;; amdgpu-corpus repo=ROCm/rocm-libraries kind=harvested arch=n/a opt=n/a

/******************************************/
/* Begin Kernel                           */
/******************************************/
.amdgcn_target "amdgcn-amd-amdhsa--gfx942"
.text
.protected Custom_Cijk_Ailk_Bljk_HSS_BH_Bias_GG_AS_SAV_UserArgs_shortname15_gfx942
.globl Custom_Cijk_Ailk_Bljk_HSS_BH_Bias_GG_AS_SAV_UserArgs_shortname15_gfx942
.p2align 8
.type Custom_Cijk_Ailk_Bljk_HSS_BH_Bias_GG_AS_SAV_UserArgs_shortname15_gfx942,@function
.section .rodata,#alloc
.p2align 6
.amdhsa_kernel Custom_Cijk_Ailk_Bljk_HSS_BH_Bias_GG_AS_SAV_UserArgs_shortname15_gfx942
  .amdhsa_user_sgpr_kernarg_segment_ptr 1
  .amdhsa_accum_offset 256 // accvgpr offset
  .amdhsa_next_free_vgpr 512 // vgprs
  .amdhsa_next_free_sgpr 102 // sgprs
  .amdhsa_group_segment_fixed_size 65536 // lds bytes
  .amdhsa_private_segment_fixed_size 0
  .amdhsa_system_sgpr_workgroup_id_x 1
  .amdhsa_system_sgpr_workgroup_id_y 1
  .amdhsa_system_sgpr_workgroup_id_z 1
  .amdhsa_system_vgpr_workitem_id 0
  .amdhsa_float_denorm_mode_32 3
  .amdhsa_float_denorm_mode_16_64 3
  .amdhsa_user_sgpr_count 13
  .amdhsa_user_sgpr_kernarg_preload_length 11
  .amdhsa_user_sgpr_kernarg_preload_offset 0
.end_amdhsa_kernel
.text
/* Num VGPR   =160 */
/* Num AccVGPR=352 */
/* Num SGPR   =87 */

/******************************************/
/* Optimizations and Config:              */
/******************************************/
/* ThreadTile= 32 x 11 */
/* SubGroup= 8 x 32 */
/* VectorWidthA=8 */
/* VectorWidthB=1 */
/* GlobalReadVectorWidthA=4, GlobalReadVectorWidthB=4 */
/* DirectToLdsA=False */
/* DirectToLdsB=False */
/* UseSgprForGRO=1 */
.amdgpu_metadata
---
custom.config:
   ProblemType:
      OperationType: GEMM
      DataType: h
      DestDataType: s
      ComputeDataType: s
      HighPrecisionAccumulate: True
      TransposeA: False
      TransposeB: False
      UseBias: 1
      Activation: True
      UseScaleAlphaVec: 1
      UseBeta: True
      Batched: True
      GroupedGemm:   True
      SupportUserArgs: True
   EnableF32XdlMathOp: False
   EnableMatrixInstruction: True
   MFMA_BF16_1K: False
   MIBlock: [16, 16, 16, 1, 1, 1]
   MIInputPerThread: 4
   MIInputPerThreadA: 4
   MIInputPerThreadB: 4
   MIInputPerThreadMetadata: 4
   MIWaveGroup: [2, 2]
   MIWaveTile: [8, 11]
   MatrixInstB: 1
   MatrixInstBM: 1
   MatrixInstBN: 1
   MatrixInstK: 16
   MatrixInstM: 16
   MatrixInstN: 16
   MatrixInstruction: [16, 16, 16, 1]
   Sparse: 0
   ThreadTile: [1, 1]
   WavefrontSize: 64
   WorkGroup: [32, 8, 1]
   1LDSBuffer: 1
   ScheduleIterAlg: 3
   DepthU: 32
   StaggerU: 0
   WorkGroupMapping: 1
   WaveSeparateGlobalReadA: 1
   WaveSeparateGlobalReadB: 1
   GlobalReadVectorWidthA: 4
   GlobalReadVectorWidthB: 4
   AssertFree0ElementMultiple: 8
   AssertSummationElementMultiple: 1
   InternalSupportParams:
      KernArgsVersion: 0
      SupportUserGSU: False
      SupportCustomWGM: False
      SupportCustomStaggerU: False
      UseUniversalArgs: False
amdhsa.version:
  - 1
  - 1
amdhsa.kernels:
  - .name: Custom_Cijk_Ailk_Bljk_HSS_BH_Bias_GG_AS_SAV_UserArgs_shortname15_gfx942
    .symbol: 'Custom_Cijk_Ailk_Bljk_HSS_BH_Bias_GG_AS_SAV_UserArgs_shortname15_gfx942.kd'
    .language:                   OpenCL C
    .language_version:
      - 2
      - 0
    .args:
      - .name:            SizesFree0
        .size:            4
        .offset:          0
        .value_kind:      by_value
        .value_type:      u32
      - .name:            SizesFree1
        .size:            4
        .offset:          4
        .value_kind:      by_value
        .value_type:      u32
      - .name:            SizesFree2
        .size:            4
        .offset:          8
        .value_kind:      by_value
        .value_type:      u32
      - .name:            SizesSum0
        .size:            4
        .offset:          12
        .value_kind:      by_value
        .value_type:      u32
      - .name:            D
        .size:            8
        .offset:          16
        .value_kind:      global_buffer
        .value_type:      f16
        .address_space:   generic
      - .name:            C
        .size:            8
        .offset:          24
        .value_kind:      global_buffer
        .value_type:      f16
        .address_space:   generic
      - .name:            A
        .size:            8
        .offset:          32
        .value_kind:      global_buffer
        .value_type:      f16
        .address_space:   generic
      - .name:            B
        .size:            8
        .offset:          40
        .value_kind:      global_buffer
        .value_type:      f16
        .address_space:   generic
      - .name:            strideD0
        .size:            4
        .offset:          48
        .value_kind:      by_value
        .value_type:      u32
      - .name:            strideD1
        .size:            4
        .offset:          52
        .value_kind:      by_value
        .value_type:      u32
      - .name:            strideC0
        .size:            4
        .offset:          56
        .value_kind:      by_value
        .value_type:      u32
      - .name:            strideC1
        .size:            4
        .offset:          60
        .value_kind:      by_value
        .value_type:      u32
      - .name:            strideA0
        .size:            4
        .offset:          64
        .value_kind:      by_value
        .value_type:      u32
      - .name:            strideA1
        .size:            4
        .offset:          68
        .value_kind:      by_value
        .value_type:      u32
      - .name:            strideB0
        .size:            4
        .offset:          72
        .value_kind:      by_value
        .value_type:      u32
      - .name:            strideB1
        .size:            4
        .offset:          76
        .value_kind:      by_value
        .value_type:      u32
      - .name:            alpha
        .size:            4
        .offset:          80
        .value_kind:      by_value
        .value_type:      f32
      - .name:            beta
        .size:            4
        .offset:          84
        .value_kind:      by_value
        .value_type:      f32
      - .name:            AddressScaleAlphaVec
        .size:            8
        .offset:          88
        .value_kind:      global_buffer
        .value_type:      f32
        .address_space:   generic
      - .name:            bias
        .size:            8
        .offset:          96
        .value_kind:      global_buffer
        .value_type:      void
        .address_space:   generic
      - .name:            biasType
        .size:            4
        .offset:          104
        .value_kind:      by_value
        .value_type:      u32
      - .name:            StrideBias
        .size:            4
        .offset:          108
        .value_kind:      by_value
        .value_type:      u32
      - .name:            activationAlpha
        .size:            4
        .offset:          112
        .value_kind:      by_value
        .value_type:      f32
      - .name:            activationBeta
        .size:            4
        .offset:          116
        .value_kind:      by_value
        .value_type:      f32
      - .name:            activationType
        .size:            4
        .offset:          120
        .value_kind:      by_value
        .value_type:      u32
    .group_segment_fixed_size:   40448
    .kernarg_segment_align:      8
    .kernarg_segment_size:       128
    .max_flat_workgroup_size:    256
    .private_segment_fixed_size: 0
    .sgpr_count:                 87
    .sgpr_spill_count:           0
    .vgpr_count:                 160
    .vgpr_spill_count:           0
    .wavefront_size:             64
...
.end_amdgpu_metadata
Custom_Cijk_Ailk_Bljk_HSS_BH_Bias_GG_AS_SAV_UserArgs_shortname15_gfx942:
.long 0xC00206C0, 0x00000000
.long 0xC0020B80, 0x00000018
	;; [unrolled: 1-line block ×4, first 2 shown]
.long 0xBF8CC07F
.long 0xBF82003D
	;; [unrolled: 1-line block ×63, first 2 shown]
.long 0xBEBC00FF, 0x05040100
.long 0xBEBD00FF, 0x07060302
	;; [unrolled: 1-line block ×3, first 2 shown]
.long 0x7F100300
.long 0xBE82000D
	;; [unrolled: 1-line block ×6, first 2 shown]
.long 0xBE9A00FF, 0x0000007C
.long 0x9216841B
.long 0xBE900100
.long 0xBF820004
.long 0xBE9A00FF, 0x000000C4
.long 0xBE960080
.long 0xBE900106
.long 0xBE980081
.long 0xBE970080
.long 0xC0080308, 0x00000016
.long 0xB41B0001
	;; [unrolled: 5-line block ×3, first 2 shown]
.long 0xBE930080
.long 0x92120DFF, 0x00000174
.long 0x8E929012
.long 0x9215FF0D, 0x00005D18
.long 0x80121215
.long 0x82138013
	;; [unrolled: 1-line block ×3, first 2 shown]
.long 0x9213FF12, 0x00000160
.long 0xBF070D13
.long 0x82158012
	;; [unrolled: 1-line block ×9, first 2 shown]
.long 0xC0080308, 0x00000016
.long 0x80188118
.long 0xBF0A1B18
	;; [unrolled: 1-line block ×5, first 2 shown]
.long 0x86120CFF, 0x000000FF
.long 0x82148014
.long 0xBE930080
.long 0x92120DFF, 0x00000174
.long 0x8E929012
.long 0x9215FF0D, 0x00005D18
.long 0x80121215
.long 0x82138013
	;; [unrolled: 1-line block ×3, first 2 shown]
.long 0x9213FF12, 0x00000160
.long 0xBF070D13
.long 0x82158012
	;; [unrolled: 1-line block ×13, first 2 shown]
.long 0x920BFF0B, 0x0000007C
.long 0x80000B00
.long 0x82018001
.long 0xC0120600, 0x00000000
.long 0xC00A0A00, 0x00000040
	;; [unrolled: 1-line block ×3, first 2 shown]
.long 0xBF82000C
.long 0x920BFF0B, 0x000000C4
.long 0x80060B06
.long 0x82078007
.long 0xC0120603, 0x00000000
.long 0xC00A0A03, 0x00000040
	;; [unrolled: 1-line block ×4, first 2 shown]
.long 0x260310BF
.long 0x2600028F
	;; [unrolled: 1-line block ×31, first 2 shown]
.long 0xBE8F00FF, 0x00000100
.long 0xD2850002, 0x0002040F
.long 0xD1FE0086, 0x02060102
.long 0x20011088
.long 0xBE8F00FF, 0x00000160
.long 0xD2850000, 0x0002000F
	;; [unrolled: 1-line block ×3, first 2 shown]
.long 0x20050E87
.long 0x24040483
	;; [unrolled: 1-line block ×3, first 2 shown]
.long 0x330F0EFF, 0x00004000
.long 0x260910BF
.long 0x20020886
	;; [unrolled: 1-line block ×14, first 2 shown]
.long 0x920FFF0F, 0x00000058
.long 0x6804040F
.long 0x24060682
	;; [unrolled: 1-line block ×3, first 2 shown]
.long 0x10B808FF, 0x00000100
.long 0xD1FE005C, 0x0206B900
.long 0x10BA04A0
.long 0xD1FE005D, 0x0206BB05
.long 0x200CBA87
.long 0x240C0C83
	;; [unrolled: 1-line block ×3, first 2 shown]
.long 0x32BABAFF, 0x00004000
.long 0xBF8CC07F
.long 0x7E1002FF, 0x00000100
.long 0x7E0E0218
.long 0x7E0C0D08
	;; [unrolled: 1-line block ×8, first 2 shown]
.long 0xD0CD006A, 0x00010109
.long 0xD11C6A06, 0x01A90106
.long 0x7E1002FF, 0x00000160
.long 0x7E0E0219
.long 0x7E1A0506
	;; [unrolled: 1-line block ×9, first 2 shown]
.long 0xD0CD006A, 0x00010109
.long 0xD11C6A06, 0x01A90106
.long 0xBF800000
.long 0x7E1C0506
	;; [unrolled: 1-line block ×12, first 2 shown]
.long 0xD1080007, 0x0000A106
.long 0x6A0E0E02
.long 0xD0DA007E, 0x0000A107
.long 0x680C0C81
.long 0xBEFE01C1
	;; [unrolled: 1-line block ×13, first 2 shown]
.long 0xD1080007, 0x00001B06
.long 0x6A0E0E02
.long 0xD0DA007E, 0x00001B07
.long 0x680C0C81
.long 0xBEFE01C1
	;; [unrolled: 1-line block ×13, first 2 shown]
.long 0xD042006A, 0x0001002C
.long 0xBF860001
.long 0xBE9B0080
	;; [unrolled: 1-line block ×9, first 2 shown]
.long 0xD1080007, 0x00005D06
.long 0x6A0E0E03
.long 0xD0DA007E, 0x00005D07
.long 0x680C0C81
.long 0x7E0E0280
	;; [unrolled: 1-line block ×11, first 2 shown]
.long 0xBED400FF, 0x10000001
.long 0x96515403
.long 0x92505403
	;; [unrolled: 1-line block ×21, first 2 shown]
.long 0xD1080007, 0x0000A506
.long 0x6A0E0E51
.long 0xD0DA007E, 0x0000A507
.long 0x680C0C81
.long 0x7E0E0280
	;; [unrolled: 1-line block ×7, first 2 shown]
.long 0xD2850006, 0x00020228
.long 0x32BC0D00
.long 0x68BCBC84
	;; [unrolled: 1-line block ×17, first 2 shown]
.long 0xD2850006, 0x0002042A
.long 0x32BE0D03
.long 0x68BEBE84
	;; [unrolled: 1-line block ×19, first 2 shown]
.long 0x924DFF2A, 0x00000048
.long 0x8E4D814D
.long 0x924EFF2A, 0x00000050
.long 0x8E4E814E
.long 0x9653FF02, 0x00000100
.long 0x9252FF02, 0x00000100
.long 0x965108A0
.long 0x925008A0
	;; [unrolled: 1-line block ×32, first 2 shown]
.long 0xBEB300FF, 0x00020000
.long 0x9653FF03, 0x00000160
	;; [unrolled: 1-line block ×3, first 2 shown]
.long 0x96532A52
.long 0x92522A52
	;; [unrolled: 1-line block ×32, first 2 shown]
.long 0xBEB700FF, 0x00020000
.long 0x924FC02E
.long 0x920F284F
	;; [unrolled: 1-line block ×12, first 2 shown]
.long 0xD1080001, 0x00005D00
.long 0x6A02020B
.long 0xD0DA007E, 0x00005D01
.long 0x68000081
.long 0x7E020280
	;; [unrolled: 1-line block ×11, first 2 shown]
.long 0xE0541000, 0x800C605E
.long 0xE0541000, 0x3E0C625E
	;; [unrolled: 1-line block ×19, first 2 shown]
.long 0x80300F30
.long 0x82318031
	;; [unrolled: 1-line block ×14, first 2 shown]
.long 0xBE9200FF, 0x80000000
.long 0xBE9300FF, 0x00020000
.long 0xBE94001E
.long 0xBE95001F
.long 0xBE9600FF, 0x80000000
.long 0xBE9700FF, 0x00020000
	;; [unrolled: 1-line block ×3, first 2 shown]
.long 0x96512652
.long 0x92502652
.long 0x8ED00550
.long 0x8014501E
.long 0x8215511F
.long 0x96512452
.long 0x92502452
.long 0x8ED00A50
.long 0x8010501C
.long 0x8211511D
.long 0x96512704
.long 0x92502704
.long 0x8ED00550
.long 0x80145014
.long 0x82155115
.long 0x96512504
.long 0x92502504
.long 0x8ED00A50
.long 0x80105010
.long 0x82115111
.long 0xBF06812E
.long 0xBF850011
.long 0x96510818
.long 0x92500818
.long 0x80D48119
.long 0x92540854
.long 0x96532654
.long 0x92522654
.long 0x80505250
.long 0x82515351
.long 0x80D4811A
.long 0x92540854
.long 0x96532754
.long 0x92522754
.long 0x80505250
.long 0x82515351
.long 0x8ED08250
.long 0x80105010
.long 0x82115111
.long 0xD3D94000, 0x18000080
.long 0xD3D94001, 0x18000080
	;; [unrolled: 1-line block ×256, first 2 shown]
.long 0x7F400280
.long 0x7F420280
	;; [unrolled: 1-line block ×99, first 2 shown]
.long 0x815284FF, 0x000057E0
.long 0x80505250
.long 0x82518051
	;; [unrolled: 1-line block ×4, first 2 shown]
.long 0xD89A0000, 0x0000605C
.long 0xD89A0200, 0x0000625C
	;; [unrolled: 1-line block ×19, first 2 shown]
.long 0xBF06810B
.long 0xBF850026
.long 0xE0541000, 0x800C605E
.long 0xE0541000, 0x3E0C625E
	;; [unrolled: 1-line block ×19, first 2 shown]
.long 0xBF8CC07F
.long 0xBF8A0000
.long 0xD9FE0000, 0x10000086
.long 0xD9FE0200, 0x18000086
	;; [unrolled: 1-line block ×15, first 2 shown]
.long 0xBF8CCB7F
.long 0xD1ED0000, 0x00F22118
.long 0xD1ED0001, 0x00F24128
	;; [unrolled: 1-line block ×16, first 2 shown]
.long 0xBF06810B
.long 0xBF850479
	;; [unrolled: 1-line block ×5, first 2 shown]
.long 0xD3CD8000, 0x04020130
.long 0xD9FE2000, 0x14000086
.long 0x80300F30
.long 0xD3CD8004, 0x04120530
.long 0xD9FE2200, 0x1C000086
.long 0x82318031
	;; [unrolled: 3-line block ×12, first 2 shown]
.long 0xD3CD8030, 0x04C21132
.long 0xD8EC4420, 0x56000087
	;; [unrolled: 1-line block ×14, first 2 shown]
.long 0xBF8CC07F
.long 0xBF8A0000
.long 0xD3CD805C, 0x05721D34
.long 0xBF8C4F72
.long 0xD89A0000, 0x0000605C
.long 0xD3CD8060, 0x05820136
.long 0xE0541000, 0x800C605E
.long 0xD3CD8064, 0x05920536
.long 0xD3CD8068, 0x05A20936
.long 0xD3CD806C, 0x05B20D36
.long 0xD3CD8070, 0x05C21136
.long 0xD3CD8074, 0x05D21536
.long 0xD3CD8078, 0x05E21936
.long 0xBF8C4F72
.long 0xD89A0200, 0x0000625C
.long 0xD3CD807C, 0x05F21D36
.long 0xE0541000, 0x3E0C625E
.long 0xD3CD8080, 0x06020138
.long 0xD3CD8084, 0x06120538
.long 0xD3CD8088, 0x06220938
.long 0xD3CD808C, 0x06320D38
.long 0xD3CD8090, 0x06421138
	;; [unrolled: 10-line block ×7, first 2 shown]
.long 0xD3CD00C0, 0x07020142
.long 0xD3CD00C4, 0x07120542
.long 0xBF8C4F72
.long 0xD89A0E00, 0x00006E5C
.long 0xD3CD00C8, 0x07220942
	;; [unrolled: 1-line block ×10, first 2 shown]
.long 0xBF8C4F72
.long 0xD89A0000, 0x0000705D
.long 0xD3CD00E4, 0x07920544
	;; [unrolled: 1-line block ×24, first 2 shown]
.long 0xBF8C4F72
.long 0xD89A0220, 0x0000725D
.long 0xD3CD8000, 0x04031546
.long 0xE0541000, 0x450D725F
.long 0xD3CD8004, 0x04131946
.long 0xD3CD8008, 0x04231D46
.long 0xD3CD800C, 0x04332146
.long 0xD3CD8010, 0x04432546
.long 0xD3CD8014, 0x04532946
.long 0xD3CD8018, 0x04632D46
.long 0xBF8C4F72
.long 0xD89A0440, 0x0000745D
.long 0xD3CD801C, 0x04733146
.long 0xE0541000, 0x460D745F
.long 0xD3CD8020, 0x04831548
.long 0xD3CD8024, 0x04931948
.long 0xD3CD8028, 0x04A31D48
.long 0xD3CD802C, 0x04B32148
.long 0xD3CD8030, 0x04C32548
.long 0xD3CD8034, 0x04D32948
	;; [unrolled: 10-line block ×5, first 2 shown]
.long 0xD3CD808C, 0x0633214E
.long 0xBF8C4F72
.long 0xD89A0CC0, 0x00007C5D
.long 0xD3CD8090, 0x0643254E
.long 0xE0541000, 0x4A0D7C5F
.long 0xD3CD8094, 0x0653294E
.long 0xD3CD8098, 0x06632D4E
.long 0xD3CD809C, 0x0673314E
.long 0xD3CD80A0, 0x06831550
.long 0xD3CD80A4, 0x06931950
.long 0xD3CD80A8, 0x06A31D50
.long 0xBF8C4F72
.long 0xD89A0EE0, 0x00007E5D
.long 0xD3CD80AC, 0x06B32150
.long 0xE0541000, 0x4B0D7E5F
.long 0xD3CD80B0, 0x06C32550
.long 0xD3CD80B4, 0x06D32950
.long 0xD3CD80B8, 0x06E32D50
.long 0xD3CD80BC, 0x06F33150
.long 0xD3CD80C0, 0x07031552
	;; [unrolled: 10-line block ×4, first 2 shown]
.long 0xD3CD80FC, 0x07F33154
.long 0xBF8C4F72
.long 0xD89A1540, 0x0000845D
.long 0xD3CD00A0, 0x06831556
	;; [unrolled: 1-line block ×5, first 2 shown]
.long 0xBF8CC07F
.long 0xBF8A0000
.long 0xD3CD00AC, 0x06B32156
.long 0xD9FE0000, 0x10000086
.long 0xD3CD00B0, 0x06C32556
.long 0xD9FE0200, 0x18000086
.long 0xD3CD00B4, 0x06D32956
.long 0xD9FE0400, 0x20000086
.long 0xD3CD00B8, 0x06E32D56
.long 0xD9FE0600, 0x28000086
.long 0xD3CD00BC, 0x06F33156
.long 0xD8EC0000, 0x30000087
.long 0xD3CD00C0, 0x07031558
.long 0xD8EC0880, 0x32000087
.long 0xD3CD00C4, 0x07131958
.long 0xD8EC1100, 0x34000087
.long 0xD3CD00C8, 0x07231D58
.long 0xD8EC1980, 0x36000087
.long 0xD3CD00CC, 0x07332158
.long 0xD8EC2200, 0x38000087
.long 0xD3CD00D0, 0x07432558
.long 0xD8EC2A80, 0x3A000087
.long 0xD3CD00D4, 0x07532958
.long 0xD8EC3300, 0x3C000087
.long 0xD3CD00D8, 0x07632D58
.long 0xD8EC3B80, 0x3E000087
.long 0xD3CD00DC, 0x07733158
.long 0xD8EC4400, 0x40000087
.long 0xD3CD00E0, 0x0783155A
.long 0xD8EC4C80, 0x42000087
.long 0xD3CD00E4, 0x0793195A
.long 0xD8EC5500, 0x44000087
.long 0xBF8CCB7F
.long 0xD1ED0000, 0x00F22118
.long 0xD3CD00E8, 0x07A31D5A
	;; [unrolled: 1-line block ×22, first 2 shown]
.long 0x808B810B
.long 0xBF00820B
	;; [unrolled: 1-line block ×4, first 2 shown]
.long 0xD3CD8000, 0x04020130
.long 0xD9FE2000, 0x14000086
.long 0x80300F30
.long 0xD3CD8004, 0x04120530
.long 0xD9FE2200, 0x1C000086
.long 0x82318031
.long 0xD3CD8008, 0x04220930
.long 0xD9FE2400, 0x24000086
.long 0x80B80F38
.long 0xD3CD800C, 0x04320D30
.long 0xD9FE2600, 0x2C000086
.long 0x82B98039
.long 0xD3CD8010, 0x04421130
.long 0xD8EC0020, 0x46000087
.long 0xBF068039
.long 0xD3CD8014, 0x04521530
.long 0xD8EC08A0, 0x48000087
.long 0xBEB20238
.long 0xD3CD8018, 0x04621930
.long 0xD8EC1120, 0x4A000087
.long 0x80342F34
.long 0xD3CD801C, 0x04721D30
.long 0xD8EC19A0, 0x4C000087
.long 0x82358035
.long 0xD3CD8020, 0x04820132
.long 0xD8EC2220, 0x4E000087
.long 0x80BA2F3A
.long 0xD3CD8024, 0x04920532
.long 0xD8EC2AA0, 0x50000087
.long 0x82BB803B
.long 0xD3CD8028, 0x04A20932
.long 0xD8EC3320, 0x52000087
.long 0xBF06803B
.long 0xD3CD802C, 0x04B20D32
.long 0xD8EC3BA0, 0x54000087
.long 0xBEB6023A
.long 0xD3CD8030, 0x04C21132
.long 0xD8EC4420, 0x56000087
	;; [unrolled: 1-line block ×14, first 2 shown]
.long 0xBF8CC07F
.long 0xBF8A0000
.long 0xD3CD805C, 0x05721D34
.long 0xBF8C4F72
.long 0xD89A0000, 0x0000605C
.long 0xD3CD8060, 0x05820136
.long 0xD3CD8064, 0x05920536
.long 0xD3CD8068, 0x05A20936
.long 0xD3CD806C, 0x05B20D36
.long 0xD3CD8070, 0x05C21136
.long 0xD3CD8074, 0x05D21536
.long 0xD3CD8078, 0x05E21936
.long 0xBF8C4F71
.long 0xD89A0200, 0x0000625C
.long 0xD3CD807C, 0x05F21D36
.long 0xD3CD8080, 0x06020138
.long 0xD3CD8084, 0x06120538
.long 0xD3CD8088, 0x06220938
.long 0xD3CD808C, 0x06320D38
.long 0xD3CD8090, 0x06421138
	;; [unrolled: 9-line block ×7, first 2 shown]
.long 0xD3CD00C0, 0x07020142
.long 0xD3CD00C4, 0x07120542
.long 0xBF8C0F7B
.long 0xD89A0E00, 0x00006E5C
.long 0xD3CD00C8, 0x07220942
	;; [unrolled: 1-line block ×8, first 2 shown]
.long 0xBF8C0F7A
.long 0xD89A0000, 0x0000705D
.long 0xD3CD00E4, 0x07920544
	;; [unrolled: 1-line block ×24, first 2 shown]
.long 0xBF8C0F79
.long 0xD89A0220, 0x0000725D
.long 0xD3CD8000, 0x04031546
.long 0xD3CD8004, 0x04131946
.long 0xD3CD8008, 0x04231D46
.long 0xD3CD800C, 0x04332146
.long 0xD3CD8010, 0x04432546
.long 0xD3CD8014, 0x04532946
.long 0xD3CD8018, 0x04632D46
.long 0xBF8C0F78
.long 0xD89A0440, 0x0000745D
.long 0xD3CD801C, 0x04733146
.long 0xD3CD8020, 0x04831548
.long 0xD3CD8024, 0x04931948
.long 0xD3CD8028, 0x04A31D48
.long 0xD3CD802C, 0x04B32148
.long 0xD3CD8030, 0x04C32548
.long 0xD3CD8034, 0x04D32948
	;; [unrolled: 9-line block ×5, first 2 shown]
.long 0xD3CD808C, 0x0633214E
.long 0xBF8C0F74
.long 0xD89A0CC0, 0x00007C5D
.long 0xD3CD8090, 0x0643254E
.long 0xD3CD8094, 0x0653294E
.long 0xD3CD8098, 0x06632D4E
.long 0xD3CD809C, 0x0673314E
.long 0xD3CD80A0, 0x06831550
.long 0xD3CD80A4, 0x06931950
.long 0xD3CD80A8, 0x06A31D50
.long 0xBF8C0F73
.long 0xD89A0EE0, 0x00007E5D
.long 0xD3CD80AC, 0x06B32150
.long 0xD3CD80B0, 0x06C32550
.long 0xD3CD80B4, 0x06D32950
.long 0xD3CD80B8, 0x06E32D50
.long 0xD3CD80BC, 0x06F33150
.long 0xD3CD80C0, 0x07031552
	;; [unrolled: 9-line block ×4, first 2 shown]
.long 0xD3CD80FC, 0x07F33154
.long 0xBF8C0F70
.long 0xD89A1540, 0x0000845D
.long 0xD3CD00A0, 0x06831556
	;; [unrolled: 1-line block ×4, first 2 shown]
.long 0xBF8CC07F
.long 0xBF8A0000
.long 0xD3CD00AC, 0x06B32156
.long 0xD9FE0000, 0x10000086
	;; [unrolled: 1-line block ×30, first 2 shown]
.long 0xBF8CCB7F
.long 0xD1ED0000, 0x00F22118
.long 0xD3CD00E8, 0x07A31D5A
	;; [unrolled: 1-line block ×22, first 2 shown]
.long 0xBF06812E
.long 0xBF840F46
	;; [unrolled: 1-line block ×5, first 2 shown]
.long 0x815684FF, 0x00003D08
.long 0x80545654
.long 0x82558055
.long 0xBE801D54
.long 0xBF06F22C
.long 0xBF850006
.long 0xBED41C00
.long 0x815684FF, 0x00003CE8
.long 0x80545654
.long 0x82558055
	;; [unrolled: 1-line block ×3, first 2 shown]
.long 0x865018FF, 0x000000FF
.long 0x80510DC1
.long 0xBF095102
	;; [unrolled: 1-line block ×6, first 2 shown]
.long 0x815684FF, 0x00003CB4
.long 0x80545654
.long 0x82558055
	;; [unrolled: 1-line block ×4, first 2 shown]
.long 0x925219FF, 0x00000174
.long 0x8ED29052
.long 0x9251FF19, 0x00005D18
.long 0x80525251
.long 0x82538053
.long 0x8FD2A152
.long 0xBED10052
.long 0x9252FF51, 0x00000160
.long 0x80D05219
.long 0x80510EC1
.long 0xBF095103
.long 0x85508050
.long 0xB5500000
.long 0xBF840006
.long 0xBED41C00
.long 0x815684FF, 0x00003C54
.long 0x80545654
.long 0x82558055
.long 0xBE801D54
	;; [unrolled: 8-line block ×3, first 2 shown]
.long 0xBF8CC07F
.long 0xD3CD8000, 0x04020130
.long 0xD9FE2000, 0x14000086
	;; [unrolled: 1-line block ×98, first 2 shown]
.long 0xBF8CCB7F
.long 0xD1ED008A, 0x00F2291C
.long 0xD1ED008B, 0x00F2492C
	;; [unrolled: 1-line block ×21, first 2 shown]
.long 0xBF8CC07F
.long 0xD3CD8000, 0x04031546
.long 0xD3CD8004, 0x04131946
	;; [unrolled: 1-line block ×88, first 2 shown]
.long 0xBF128006
.long 0xBF840005
.long 0xC00E0C00, 0x00000058
.long 0xC0020E00, 0x00000078
.long 0xBF820008
.long 0xC00A0C03, 0x00000090
.long 0xC0060D03, 0x000000A0
	;; [unrolled: 1-line block ×4, first 2 shown]
.long 0x20091086
.long 0x200A0881
.long 0xD2850005, 0x00020A90
.long 0x260310BF
.long 0x20020284
.long 0x24020282
.long 0xD1FE0001, 0x02020305
.long 0xD2850002, 0x00004D01
.long 0xD2850003, 0x00004901
.long 0x26000881
.long 0xD2850000, 0x00020090
.long 0x260B108F
.long 0xD1FE0000, 0x020E0105
.long 0x920502FF, 0x00000100
.long 0x68000005
.long 0x920503FF, 0x00000160
.long 0x68020205
.long 0xBF8CC07F
	;; [unrolled: 1-line block ×4, first 2 shown]
.long 0xBEBF00FF, 0x00020000
.long 0xBF128030
.long 0xBF840002
	;; [unrolled: 1-line block ×12, first 2 shown]
.long 0xBEC300FF, 0x00020000
.long 0xBF128032
.long 0xBF840002
.long 0xBEC20080
.long 0xBF820001
.long 0xBEC20005
.long 0xB4B40000
.long 0xBF85000F
.long 0x92424284
.long 0x920502FF, 0x00000100
.long 0x68111005
.long 0x92050435
	;; [unrolled: 1-line block ×4, first 2 shown]
.long 0xE0501000, 0x80100408
.long 0x24111082
.long 0xBF8C0F70
.long 0xBF8A0000
.long 0xD81A0000, 0x00000408
.long 0xBF820012
.long 0xB4B40004
.long 0xBF850010
.long 0x92424282
.long 0x920502FF, 0x00000100
.long 0x68111005
	;; [unrolled: 5-line block ×4, first 2 shown]
.long 0xB4380001
.long 0xBF850014
	;; [unrolled: 1-line block ×17, first 2 shown]
.long 0x810584FF, 0x00019174
.long 0x803A053A
.long 0x823B803B
.long 0xBF820030
.long 0xBEBA1C00
.long 0x810584FF, 0x00019160
.long 0x803A053A
.long 0x823B803B
.long 0xBF82002A
.long 0xBEBA1C00
	;; [unrolled: 5-line block ×8, first 2 shown]
.long 0x810584FF, 0x00019694
.long 0x803A053A
.long 0x823B803B
	;; [unrolled: 1-line block ×3, first 2 shown]
.long 0x924602FF, 0x00000100
.long 0xD135000F, 0x00008D00
.long 0x241E1E82
.long 0xBF8CC07F
.long 0xBF8A0000
.long 0xD9FE0000, 0x1800000F
.long 0xD9FE0010, 0x1C00000F
.long 0x24200082
.long 0xE05C1000, 0x800F2010
.long 0xE05C1010, 0x800F2410
	;; [unrolled: 1-line block ×35, first 2 shown]
.long 0xBF800001
.long 0xBF8C0000
.long 0xD0CC0030, 0x0001003E
.long 0xD1000020, 0x00C240F2
	;; [unrolled: 1-line block ×20, first 2 shown]
.long 0xBEC41E3A
.long 0x7E500304
.long 0x7E520305
.long 0x7E540306
.long 0x7E560307
.long 0x7E580308
.long 0x7E5A0309
.long 0x7E5C030A
.long 0x7E5E030B
.long 0xE07C1000, 0x8004280D
.long 0xE07C1010, 0x80042C0D
.long 0xD0CC0030, 0x0001003E
.long 0xD1000020, 0x00C240F2
.long 0xD1000021, 0x00C242F2
.long 0xD3B14030, 0x18026120
.long 0xD0CC0030, 0x0001003E
.long 0xD1000022, 0x00C244F2
.long 0xD1000023, 0x00C246F2
.long 0xD3B14032, 0x18026522
.long 0xD0CC0030, 0x0001003E
.long 0xD1000024, 0x00C248F2
.long 0xD1000025, 0x00C24AF2
.long 0xD3B14034, 0x18026924
.long 0xD0CC0030, 0x0001003E
.long 0xD1000026, 0x00C24CF2
.long 0xD1000027, 0x00C24EF2
.long 0xD3B14036, 0x18026D26
.long 0xD3B24004, 0x18026118
.long 0xD3B24006, 0x1802651A
.long 0xD3B24008, 0x1802691C
.long 0xD3B2400A, 0x18026D1E
.long 0xBEC41E3A
.long 0x7E600304
.long 0x7E620305
.long 0x7E640306
.long 0x7E660307
.long 0x7E680308
.long 0x7E6A0309
.long 0x7E6C030A
.long 0x7E6E030B
.long 0x8E468224
.long 0x80104610
.long 0x82118011
.long 0xE07C1000, 0x8004300D
.long 0xE07C1010, 0x8004340D
.long 0xD0CC0030, 0x0001003E
.long 0xD1000020, 0x00C240F2
.long 0xD1000021, 0x00C242F2
.long 0xD3B14038, 0x18027120
.long 0xD0CC0030, 0x0001003E
.long 0xD1000022, 0x00C244F2
.long 0xD1000023, 0x00C246F2
.long 0xD3B1403A, 0x18027522
.long 0xD0CC0030, 0x0001003E
.long 0xD1000024, 0x00C248F2
.long 0xD1000025, 0x00C24AF2
.long 0xD3B1403C, 0x18027924
.long 0xD0CC0030, 0x0001003E
.long 0xD1000026, 0x00C24CF2
.long 0xD1000027, 0x00C24EF2
.long 0xD3B1403E, 0x18027D26
.long 0xD3B24004, 0x18027118
.long 0xD3B24006, 0x1802751A
.long 0xD3B24008, 0x1802791C
.long 0xD3B2400A, 0x18027D1E
.long 0xBEC41E3A
.long 0x7E700304
.long 0x7E720305
	;; [unrolled: 34-line block ×3, first 2 shown]
.long 0x7E840306
.long 0x7E860307
	;; [unrolled: 1-line block ×9, first 2 shown]
.long 0xE07C1000, 0x8004400D
.long 0xE07C1010, 0x8004440D
.long 0xBF800000
.long 0x924602FF, 0x00000100
.long 0xD135000F, 0x00008D00
.long 0x241E1E82
.long 0xD9FE0000, 0x1800000F
.long 0xD9FE0010, 0x1C00000F
	;; [unrolled: 1-line block ×36, first 2 shown]
.long 0xBF800001
.long 0xBF8C0000
.long 0xD0CC0030, 0x0001003E
.long 0xD1000020, 0x00C240F2
	;; [unrolled: 1-line block ×20, first 2 shown]
.long 0xBEC41E3A
.long 0x7E500304
	;; [unrolled: 1-line block ×9, first 2 shown]
.long 0x9246FF24, 0x00000074
.long 0x80104610
.long 0x82118011
.long 0xE07C1000, 0x8004280D
.long 0xE07C1010, 0x80042C0D
.long 0xD0CC0030, 0x0001003E
.long 0xD1000020, 0x00C240F2
.long 0xD1000021, 0x00C242F2
.long 0xD3B14030, 0x18026120
.long 0xD0CC0030, 0x0001003E
.long 0xD1000022, 0x00C244F2
.long 0xD1000023, 0x00C246F2
.long 0xD3B14032, 0x18026522
.long 0xD0CC0030, 0x0001003E
.long 0xD1000024, 0x00C248F2
.long 0xD1000025, 0x00C24AF2
.long 0xD3B14034, 0x18026924
.long 0xD0CC0030, 0x0001003E
.long 0xD1000026, 0x00C24CF2
.long 0xD1000027, 0x00C24EF2
.long 0xD3B14036, 0x18026D26
.long 0xD3B24004, 0x18026118
.long 0xD3B24006, 0x1802651A
.long 0xD3B24008, 0x1802691C
.long 0xD3B2400A, 0x18026D1E
.long 0xBEC41E3A
.long 0x7E600304
.long 0x7E620305
.long 0x7E640306
.long 0x7E660307
.long 0x7E680308
.long 0x7E6A0309
.long 0x7E6C030A
.long 0x7E6E030B
.long 0x8E468224
.long 0x80104610
.long 0x82118011
.long 0xE07C1000, 0x8004300D
.long 0xE07C1010, 0x8004340D
.long 0xD0CC0030, 0x0001003E
.long 0xD1000020, 0x00C240F2
.long 0xD1000021, 0x00C242F2
.long 0xD3B14038, 0x18027120
.long 0xD0CC0030, 0x0001003E
.long 0xD1000022, 0x00C244F2
.long 0xD1000023, 0x00C246F2
.long 0xD3B1403A, 0x18027522
.long 0xD0CC0030, 0x0001003E
.long 0xD1000024, 0x00C248F2
.long 0xD1000025, 0x00C24AF2
.long 0xD3B1403C, 0x18027924
.long 0xD0CC0030, 0x0001003E
.long 0xD1000026, 0x00C24CF2
.long 0xD1000027, 0x00C24EF2
.long 0xD3B1403E, 0x18027D26
.long 0xD3B24004, 0x18027118
.long 0xD3B24006, 0x1802751A
.long 0xD3B24008, 0x1802791C
.long 0xD3B2400A, 0x18027D1E
.long 0xBEC41E3A
.long 0x7E700304
.long 0x7E720305
.long 0x7E740306
.long 0x7E760307
.long 0x7E780308
.long 0x7E7A0309
.long 0x7E7C030A
.long 0x7E7E030B
.long 0x8E468224
	;; [unrolled: 34-line block ×3, first 2 shown]
.long 0x80104610
.long 0x82118011
.long 0xE07C1000, 0x8004400D
.long 0xE07C1010, 0x8004440D
.long 0xBF800000
.long 0x924602FF, 0x00000100
.long 0xD135000F, 0x00008D00
	;; [unrolled: 3-line block ×3, first 2 shown]
.long 0xE05C1000, 0x800F2010
.long 0xE05C1010, 0x800F2410
	;; [unrolled: 1-line block ×34, first 2 shown]
.long 0xBF800001
.long 0xBF8C0000
.long 0xD0CC0030, 0x0001003E
.long 0xD1000020, 0x00C240F2
	;; [unrolled: 1-line block ×20, first 2 shown]
.long 0xBEC41E3A
.long 0x7E500304
	;; [unrolled: 1-line block ×9, first 2 shown]
.long 0x9246FF24, 0x00000074
.long 0x80104610
.long 0x82118011
.long 0xE07C1000, 0x8004280D
.long 0xE07C1010, 0x80042C0D
.long 0xD0CC0030, 0x0001003E
.long 0xD1000020, 0x00C240F2
.long 0xD1000021, 0x00C242F2
.long 0xD3B14030, 0x18026120
.long 0xD0CC0030, 0x0001003E
.long 0xD1000022, 0x00C244F2
.long 0xD1000023, 0x00C246F2
.long 0xD3B14032, 0x18026522
.long 0xD0CC0030, 0x0001003E
.long 0xD1000024, 0x00C248F2
.long 0xD1000025, 0x00C24AF2
.long 0xD3B14034, 0x18026924
.long 0xD0CC0030, 0x0001003E
.long 0xD1000026, 0x00C24CF2
.long 0xD1000027, 0x00C24EF2
.long 0xD3B14036, 0x18026D26
.long 0xD3B24004, 0x18026118
.long 0xD3B24006, 0x1802651A
.long 0xD3B24008, 0x1802691C
.long 0xD3B2400A, 0x18026D1E
.long 0xBEC41E3A
.long 0x7E600304
.long 0x7E620305
.long 0x7E640306
.long 0x7E660307
.long 0x7E680308
.long 0x7E6A0309
.long 0x7E6C030A
.long 0x7E6E030B
.long 0x8E468224
.long 0x80104610
.long 0x82118011
.long 0xE07C1000, 0x8004300D
.long 0xE07C1010, 0x8004340D
.long 0xD0CC0030, 0x0001003E
.long 0xD1000020, 0x00C240F2
.long 0xD1000021, 0x00C242F2
.long 0xD3B14038, 0x18027120
.long 0xD0CC0030, 0x0001003E
.long 0xD1000022, 0x00C244F2
.long 0xD1000023, 0x00C246F2
.long 0xD3B1403A, 0x18027522
.long 0xD0CC0030, 0x0001003E
.long 0xD1000024, 0x00C248F2
.long 0xD1000025, 0x00C24AF2
.long 0xD3B1403C, 0x18027924
.long 0xD0CC0030, 0x0001003E
.long 0xD1000026, 0x00C24CF2
.long 0xD1000027, 0x00C24EF2
.long 0xD3B1403E, 0x18027D26
.long 0xD3B24004, 0x18027118
.long 0xD3B24006, 0x1802751A
.long 0xD3B24008, 0x1802791C
.long 0xD3B2400A, 0x18027D1E
.long 0xBEC41E3A
.long 0x7E700304
.long 0x7E720305
.long 0x7E740306
.long 0x7E760307
.long 0x7E780308
.long 0x7E7A0309
.long 0x7E7C030A
.long 0x7E7E030B
.long 0x8E468224
	;; [unrolled: 34-line block ×3, first 2 shown]
.long 0x80104610
.long 0x82118011
.long 0xE07C1000, 0x8004400D
.long 0xE07C1010, 0x8004440D
.long 0xBF800000
.long 0x924602FF, 0x00000100
.long 0xD135000F, 0x00008D00
	;; [unrolled: 3-line block ×3, first 2 shown]
.long 0xE05C1000, 0x800F2010
.long 0xE05C1010, 0x800F2410
	;; [unrolled: 1-line block ×34, first 2 shown]
.long 0xBF800001
.long 0xBF8C0000
.long 0xD0CC0030, 0x0001003E
.long 0xD1000020, 0x00C240F2
	;; [unrolled: 1-line block ×20, first 2 shown]
.long 0xBEC41E3A
.long 0x7E500304
	;; [unrolled: 1-line block ×9, first 2 shown]
.long 0x9246FF24, 0x00000074
.long 0x80104610
.long 0x82118011
.long 0xE07C1000, 0x8004280D
.long 0xE07C1010, 0x80042C0D
.long 0xD0CC0030, 0x0001003E
.long 0xD1000020, 0x00C240F2
.long 0xD1000021, 0x00C242F2
.long 0xD3B14030, 0x18026120
.long 0xD0CC0030, 0x0001003E
.long 0xD1000022, 0x00C244F2
.long 0xD1000023, 0x00C246F2
.long 0xD3B14032, 0x18026522
.long 0xD0CC0030, 0x0001003E
.long 0xD1000024, 0x00C248F2
.long 0xD1000025, 0x00C24AF2
.long 0xD3B14034, 0x18026924
.long 0xD0CC0030, 0x0001003E
.long 0xD1000026, 0x00C24CF2
.long 0xD1000027, 0x00C24EF2
.long 0xD3B14036, 0x18026D26
.long 0xD3B24004, 0x18026118
.long 0xD3B24006, 0x1802651A
.long 0xD3B24008, 0x1802691C
.long 0xD3B2400A, 0x18026D1E
.long 0xBEC41E3A
.long 0x7E600304
.long 0x7E620305
.long 0x7E640306
.long 0x7E660307
.long 0x7E680308
.long 0x7E6A0309
.long 0x7E6C030A
.long 0x7E6E030B
.long 0x8E468224
.long 0x80104610
.long 0x82118011
.long 0xE07C1000, 0x8004300D
.long 0xE07C1010, 0x8004340D
.long 0xD0CC0030, 0x0001003E
.long 0xD1000020, 0x00C240F2
.long 0xD1000021, 0x00C242F2
.long 0xD3B14038, 0x18027120
.long 0xD0CC0030, 0x0001003E
.long 0xD1000022, 0x00C244F2
.long 0xD1000023, 0x00C246F2
.long 0xD3B1403A, 0x18027522
.long 0xD0CC0030, 0x0001003E
.long 0xD1000024, 0x00C248F2
.long 0xD1000025, 0x00C24AF2
.long 0xD3B1403C, 0x18027924
.long 0xD0CC0030, 0x0001003E
.long 0xD1000026, 0x00C24CF2
.long 0xD1000027, 0x00C24EF2
.long 0xD3B1403E, 0x18027D26
.long 0xD3B24004, 0x18027118
.long 0xD3B24006, 0x1802751A
.long 0xD3B24008, 0x1802791C
.long 0xD3B2400A, 0x18027D1E
.long 0xBEC41E3A
.long 0x7E700304
.long 0x7E720305
.long 0x7E740306
.long 0x7E760307
.long 0x7E780308
.long 0x7E7A0309
.long 0x7E7C030A
.long 0x7E7E030B
.long 0x8E468224
.long 0x80104610
.long 0x82118011
.long 0xE07C1000, 0x8004380D
.long 0xE07C1010, 0x80043C0D
.long 0xD0CC0030, 0x0001003E
.long 0xD1000020, 0x00C240F2
.long 0xD1000021, 0x00C242F2
.long 0xD3B14040, 0x18028120
.long 0xD0CC0030, 0x0001003E
.long 0xD1000022, 0x00C244F2
.long 0xD1000023, 0x00C246F2
.long 0xD3B14042, 0x18028522
.long 0xD0CC0030, 0x0001003E
.long 0xD1000024, 0x00C248F2
.long 0xD1000025, 0x00C24AF2
.long 0xD3B14044, 0x18028924
.long 0xD0CC0030, 0x0001003E
.long 0xD1000026, 0x00C24CF2
.long 0xD1000027, 0x00C24EF2
.long 0xD3B14046, 0x18028D26
.long 0xD3B24004, 0x18028118
.long 0xD3B24006, 0x1802851A
.long 0xD3B24008, 0x1802891C
.long 0xD3B2400A, 0x18028D1E
.long 0xBEC41E3A
.long 0x7E800304
.long 0x7E820305
.long 0x7E840306
.long 0x7E860307
.long 0x7E880308
.long 0x7E8A0309
.long 0x7E8C030A
.long 0x7E8E030B
.long 0x8E468224
.long 0x80104610
.long 0x82118011
.long 0xE07C1000, 0x8004400D
.long 0xE07C1010, 0x8004440D
.long 0xBF800000
.long 0x924602FF, 0x00000100
.long 0xD135000F, 0x00008D00
	;; [unrolled: 3-line block ×3, first 2 shown]
.long 0xE05C1000, 0x800F2010
.long 0xE05C1010, 0x800F2410
	;; [unrolled: 1-line block ×34, first 2 shown]
.long 0xBF800001
.long 0xBF8C0000
.long 0xD0CC0030, 0x0001003E
.long 0xD1000020, 0x00C240F2
	;; [unrolled: 1-line block ×20, first 2 shown]
.long 0xBEC41E3A
.long 0x7E500304
	;; [unrolled: 1-line block ×9, first 2 shown]
.long 0x9246FF24, 0x00000074
.long 0x80104610
.long 0x82118011
.long 0xE07C1000, 0x8004280D
.long 0xE07C1010, 0x80042C0D
.long 0xD0CC0030, 0x0001003E
.long 0xD1000020, 0x00C240F2
.long 0xD1000021, 0x00C242F2
.long 0xD3B14030, 0x18026120
.long 0xD0CC0030, 0x0001003E
.long 0xD1000022, 0x00C244F2
.long 0xD1000023, 0x00C246F2
.long 0xD3B14032, 0x18026522
.long 0xD0CC0030, 0x0001003E
.long 0xD1000024, 0x00C248F2
.long 0xD1000025, 0x00C24AF2
.long 0xD3B14034, 0x18026924
.long 0xD0CC0030, 0x0001003E
.long 0xD1000026, 0x00C24CF2
.long 0xD1000027, 0x00C24EF2
.long 0xD3B14036, 0x18026D26
.long 0xD3B24004, 0x18026118
.long 0xD3B24006, 0x1802651A
.long 0xD3B24008, 0x1802691C
.long 0xD3B2400A, 0x18026D1E
.long 0xBEC41E3A
.long 0x7E600304
.long 0x7E620305
.long 0x7E640306
.long 0x7E660307
.long 0x7E680308
.long 0x7E6A0309
.long 0x7E6C030A
.long 0x7E6E030B
.long 0x8E468224
.long 0x80104610
.long 0x82118011
.long 0xE07C1000, 0x8004300D
.long 0xE07C1010, 0x8004340D
.long 0xD0CC0030, 0x0001003E
.long 0xD1000020, 0x00C240F2
.long 0xD1000021, 0x00C242F2
.long 0xD3B14038, 0x18027120
.long 0xD0CC0030, 0x0001003E
.long 0xD1000022, 0x00C244F2
.long 0xD1000023, 0x00C246F2
.long 0xD3B1403A, 0x18027522
.long 0xD0CC0030, 0x0001003E
.long 0xD1000024, 0x00C248F2
.long 0xD1000025, 0x00C24AF2
.long 0xD3B1403C, 0x18027924
.long 0xD0CC0030, 0x0001003E
.long 0xD1000026, 0x00C24CF2
.long 0xD1000027, 0x00C24EF2
.long 0xD3B1403E, 0x18027D26
.long 0xD3B24004, 0x18027118
.long 0xD3B24006, 0x1802751A
.long 0xD3B24008, 0x1802791C
.long 0xD3B2400A, 0x18027D1E
.long 0xBEC41E3A
.long 0x7E700304
.long 0x7E720305
.long 0x7E740306
.long 0x7E760307
.long 0x7E780308
.long 0x7E7A0309
.long 0x7E7C030A
.long 0x7E7E030B
.long 0x8E468224
	;; [unrolled: 34-line block ×3, first 2 shown]
.long 0x80104610
.long 0x82118011
.long 0xE07C1000, 0x8004400D
.long 0xE07C1010, 0x8004440D
.long 0xBF800000
.long 0x924602FF, 0x00000100
.long 0xD135000F, 0x00008D00
	;; [unrolled: 3-line block ×3, first 2 shown]
.long 0xE05C1000, 0x800F2010
.long 0xE05C1010, 0x800F2410
	;; [unrolled: 1-line block ×34, first 2 shown]
.long 0xBF800001
.long 0xBF8C0000
.long 0xD0CC0030, 0x0001003E
.long 0xD1000020, 0x00C240F2
	;; [unrolled: 1-line block ×20, first 2 shown]
.long 0xBEC41E3A
.long 0x7E500304
	;; [unrolled: 1-line block ×9, first 2 shown]
.long 0x9246FF24, 0x00000074
.long 0x80104610
.long 0x82118011
.long 0xE07C1000, 0x8004280D
.long 0xE07C1010, 0x80042C0D
.long 0xD0CC0030, 0x0001003E
.long 0xD1000020, 0x00C240F2
.long 0xD1000021, 0x00C242F2
.long 0xD3B14030, 0x18026120
.long 0xD0CC0030, 0x0001003E
.long 0xD1000022, 0x00C244F2
.long 0xD1000023, 0x00C246F2
.long 0xD3B14032, 0x18026522
.long 0xD0CC0030, 0x0001003E
.long 0xD1000024, 0x00C248F2
.long 0xD1000025, 0x00C24AF2
.long 0xD3B14034, 0x18026924
.long 0xD0CC0030, 0x0001003E
.long 0xD1000026, 0x00C24CF2
.long 0xD1000027, 0x00C24EF2
.long 0xD3B14036, 0x18026D26
.long 0xD3B24004, 0x18026118
.long 0xD3B24006, 0x1802651A
.long 0xD3B24008, 0x1802691C
.long 0xD3B2400A, 0x18026D1E
.long 0xBEC41E3A
.long 0x7E600304
.long 0x7E620305
.long 0x7E640306
.long 0x7E660307
.long 0x7E680308
.long 0x7E6A0309
.long 0x7E6C030A
.long 0x7E6E030B
.long 0x8E468224
.long 0x80104610
.long 0x82118011
.long 0xE07C1000, 0x8004300D
.long 0xE07C1010, 0x8004340D
.long 0xD0CC0030, 0x0001003E
.long 0xD1000020, 0x00C240F2
.long 0xD1000021, 0x00C242F2
.long 0xD3B14038, 0x18027120
.long 0xD0CC0030, 0x0001003E
.long 0xD1000022, 0x00C244F2
.long 0xD1000023, 0x00C246F2
.long 0xD3B1403A, 0x18027522
.long 0xD0CC0030, 0x0001003E
.long 0xD1000024, 0x00C248F2
.long 0xD1000025, 0x00C24AF2
.long 0xD3B1403C, 0x18027924
.long 0xD0CC0030, 0x0001003E
.long 0xD1000026, 0x00C24CF2
.long 0xD1000027, 0x00C24EF2
.long 0xD3B1403E, 0x18027D26
.long 0xD3B24004, 0x18027118
.long 0xD3B24006, 0x1802751A
.long 0xD3B24008, 0x1802791C
.long 0xD3B2400A, 0x18027D1E
.long 0xBEC41E3A
.long 0x7E700304
.long 0x7E720305
.long 0x7E740306
.long 0x7E760307
.long 0x7E780308
.long 0x7E7A0309
.long 0x7E7C030A
.long 0x7E7E030B
.long 0x8E468224
	;; [unrolled: 34-line block ×3, first 2 shown]
.long 0x80104610
.long 0x82118011
.long 0xE07C1000, 0x8004400D
.long 0xE07C1010, 0x8004440D
.long 0xBF800000
.long 0x924602FF, 0x00000100
.long 0xD135000F, 0x00008D00
	;; [unrolled: 3-line block ×3, first 2 shown]
.long 0xE05C1000, 0x800F2010
.long 0xE05C1010, 0x800F2410
	;; [unrolled: 1-line block ×34, first 2 shown]
.long 0xBF800001
.long 0xBF8C0000
.long 0xD0CC0030, 0x0001003E
.long 0xD1000020, 0x00C240F2
	;; [unrolled: 1-line block ×20, first 2 shown]
.long 0xBEC41E3A
.long 0x7E500304
	;; [unrolled: 1-line block ×9, first 2 shown]
.long 0x9246FF24, 0x00000074
.long 0x80104610
.long 0x82118011
.long 0xE07C1000, 0x8004280D
.long 0xE07C1010, 0x80042C0D
.long 0xD0CC0030, 0x0001003E
.long 0xD1000020, 0x00C240F2
.long 0xD1000021, 0x00C242F2
.long 0xD3B14030, 0x18026120
.long 0xD0CC0030, 0x0001003E
.long 0xD1000022, 0x00C244F2
.long 0xD1000023, 0x00C246F2
.long 0xD3B14032, 0x18026522
.long 0xD0CC0030, 0x0001003E
.long 0xD1000024, 0x00C248F2
.long 0xD1000025, 0x00C24AF2
.long 0xD3B14034, 0x18026924
.long 0xD0CC0030, 0x0001003E
.long 0xD1000026, 0x00C24CF2
.long 0xD1000027, 0x00C24EF2
.long 0xD3B14036, 0x18026D26
.long 0xD3B24004, 0x18026118
.long 0xD3B24006, 0x1802651A
.long 0xD3B24008, 0x1802691C
.long 0xD3B2400A, 0x18026D1E
.long 0xBEC41E3A
.long 0x7E600304
.long 0x7E620305
.long 0x7E640306
.long 0x7E660307
.long 0x7E680308
.long 0x7E6A0309
.long 0x7E6C030A
.long 0x7E6E030B
.long 0x8E468224
.long 0x80104610
.long 0x82118011
.long 0xE07C1000, 0x8004300D
.long 0xE07C1010, 0x8004340D
.long 0xD0CC0030, 0x0001003E
.long 0xD1000020, 0x00C240F2
.long 0xD1000021, 0x00C242F2
.long 0xD3B14038, 0x18027120
.long 0xD0CC0030, 0x0001003E
.long 0xD1000022, 0x00C244F2
.long 0xD1000023, 0x00C246F2
.long 0xD3B1403A, 0x18027522
.long 0xD0CC0030, 0x0001003E
.long 0xD1000024, 0x00C248F2
.long 0xD1000025, 0x00C24AF2
.long 0xD3B1403C, 0x18027924
.long 0xD0CC0030, 0x0001003E
.long 0xD1000026, 0x00C24CF2
.long 0xD1000027, 0x00C24EF2
.long 0xD3B1403E, 0x18027D26
.long 0xD3B24004, 0x18027118
.long 0xD3B24006, 0x1802751A
.long 0xD3B24008, 0x1802791C
.long 0xD3B2400A, 0x18027D1E
.long 0xBEC41E3A
.long 0x7E700304
.long 0x7E720305
.long 0x7E740306
.long 0x7E760307
.long 0x7E780308
.long 0x7E7A0309
.long 0x7E7C030A
.long 0x7E7E030B
.long 0x8E468224
	;; [unrolled: 34-line block ×3, first 2 shown]
.long 0x80104610
.long 0x82118011
.long 0xE07C1000, 0x8004400D
.long 0xE07C1010, 0x8004440D
.long 0xBF800000
.long 0x924602FF, 0x00000100
.long 0xD135000F, 0x00008D00
	;; [unrolled: 3-line block ×3, first 2 shown]
.long 0xE05C1000, 0x800F2010
.long 0xE05C1010, 0x800F2410
.long 0xD3D84028, 0x180001E0
.long 0xD3D84029, 0x180001E4
.long 0xD3D8402A, 0x180001E8
.long 0xD3D8402B, 0x180001EC
.long 0xD3D8402C, 0x180001F0
.long 0xD3D8402D, 0x180001F4
.long 0xD3D8402E, 0x180001F8
.long 0xD3D8402F, 0x180001FC
.long 0xD3D84030, 0x180001E1
.long 0xD3D84031, 0x180001E5
.long 0xD3D84032, 0x180001E9
.long 0xD3D84033, 0x180001ED
.long 0xD3D84034, 0x180001F1
.long 0xD3D84035, 0x180001F5
.long 0xD3D84036, 0x180001F9
.long 0xD3D84037, 0x180001FD
.long 0xD3D84038, 0x180001E2
.long 0xD3D84039, 0x180001E6
.long 0xD3D8403A, 0x180001EA
.long 0xD3D8403B, 0x180001EE
.long 0xD3D8403C, 0x180001F2
.long 0xD3D8403D, 0x180001F6
.long 0xD3D8403E, 0x180001FA
.long 0xD3D8403F, 0x180001FE
.long 0xD3D84040, 0x180001E3
.long 0xD3D84041, 0x180001E7
.long 0xD3D84042, 0x180001EB
.long 0xD3D84043, 0x180001EF
.long 0xD3D84044, 0x180001F3
.long 0xD3D84045, 0x180001F7
.long 0xD3D84046, 0x180001FB
.long 0xD3D84047, 0x180001FF
.long 0xBF800001
.long 0xBF8C0000
.long 0xD0CC0030, 0x0001003E
.long 0xD1000020, 0x00C240F2
	;; [unrolled: 1-line block ×20, first 2 shown]
.long 0xBEC41E3A
.long 0x7E500304
	;; [unrolled: 1-line block ×9, first 2 shown]
.long 0x9246FF24, 0x00000074
.long 0x80104610
.long 0x82118011
.long 0xE07C1000, 0x8004280D
.long 0xE07C1010, 0x80042C0D
.long 0xD0CC0030, 0x0001003E
.long 0xD1000020, 0x00C240F2
.long 0xD1000021, 0x00C242F2
.long 0xD3B14030, 0x18026120
.long 0xD0CC0030, 0x0001003E
.long 0xD1000022, 0x00C244F2
.long 0xD1000023, 0x00C246F2
.long 0xD3B14032, 0x18026522
.long 0xD0CC0030, 0x0001003E
.long 0xD1000024, 0x00C248F2
.long 0xD1000025, 0x00C24AF2
.long 0xD3B14034, 0x18026924
.long 0xD0CC0030, 0x0001003E
.long 0xD1000026, 0x00C24CF2
.long 0xD1000027, 0x00C24EF2
.long 0xD3B14036, 0x18026D26
.long 0xD3B24004, 0x18026118
.long 0xD3B24006, 0x1802651A
.long 0xD3B24008, 0x1802691C
.long 0xD3B2400A, 0x18026D1E
.long 0xBEC41E3A
.long 0x7E600304
.long 0x7E620305
.long 0x7E640306
.long 0x7E660307
.long 0x7E680308
.long 0x7E6A0309
.long 0x7E6C030A
.long 0x7E6E030B
.long 0x8E468224
.long 0x80104610
.long 0x82118011
.long 0xE07C1000, 0x8004300D
.long 0xE07C1010, 0x8004340D
.long 0xD0CC0030, 0x0001003E
.long 0xD1000020, 0x00C240F2
.long 0xD1000021, 0x00C242F2
.long 0xD3B14038, 0x18027120
.long 0xD0CC0030, 0x0001003E
.long 0xD1000022, 0x00C244F2
.long 0xD1000023, 0x00C246F2
.long 0xD3B1403A, 0x18027522
.long 0xD0CC0030, 0x0001003E
.long 0xD1000024, 0x00C248F2
.long 0xD1000025, 0x00C24AF2
.long 0xD3B1403C, 0x18027924
.long 0xD0CC0030, 0x0001003E
.long 0xD1000026, 0x00C24CF2
.long 0xD1000027, 0x00C24EF2
.long 0xD3B1403E, 0x18027D26
.long 0xD3B24004, 0x18027118
.long 0xD3B24006, 0x1802751A
.long 0xD3B24008, 0x1802791C
.long 0xD3B2400A, 0x18027D1E
.long 0xBEC41E3A
.long 0x7E700304
.long 0x7E720305
.long 0x7E740306
.long 0x7E760307
.long 0x7E780308
.long 0x7E7A0309
.long 0x7E7C030A
.long 0x7E7E030B
.long 0x8E468224
.long 0x80104610
.long 0x82118011
.long 0xE07C1000, 0x8004380D
.long 0xE07C1010, 0x80043C0D
.long 0xD0CC0030, 0x0001003E
.long 0xD1000020, 0x00C240F2
.long 0xD1000021, 0x00C242F2
.long 0xD3B14040, 0x18028120
.long 0xD0CC0030, 0x0001003E
.long 0xD1000022, 0x00C244F2
.long 0xD1000023, 0x00C246F2
.long 0xD3B14042, 0x18028522
.long 0xD0CC0030, 0x0001003E
.long 0xD1000024, 0x00C248F2
.long 0xD1000025, 0x00C24AF2
.long 0xD3B14044, 0x18028924
.long 0xD0CC0030, 0x0001003E
.long 0xD1000026, 0x00C24CF2
.long 0xD1000027, 0x00C24EF2
.long 0xD3B14046, 0x18028D26
.long 0xD3B24004, 0x18028118
.long 0xD3B24006, 0x1802851A
.long 0xD3B24008, 0x1802891C
.long 0xD3B2400A, 0x18028D1E
.long 0xBEC41E3A
.long 0x7E800304
.long 0x7E820305
.long 0x7E840306
.long 0x7E860307
.long 0x7E880308
.long 0x7E8A0309
.long 0x7E8C030A
.long 0x7E8E030B
.long 0x8E468224
.long 0x80104610
.long 0x82118011
.long 0xE07C1000, 0x8004400D
.long 0xE07C1010, 0x8004440D
.long 0xBF800000
.long 0x924602FF, 0x00000100
.long 0xD135000F, 0x00008D00
	;; [unrolled: 3-line block ×3, first 2 shown]
.long 0xE05C1000, 0x800F2010
.long 0xE05C1010, 0x800F2410
.long 0x7E5003A0
.long 0x7E5203A4
	;; [unrolled: 1-line block ×34, first 2 shown]
.long 0xD0CC0030, 0x0001003E
.long 0xD1000020, 0x00C240F2
	;; [unrolled: 1-line block ×20, first 2 shown]
.long 0xBEC41E3A
.long 0x7E500304
.long 0x7E520305
.long 0x7E540306
.long 0x7E560307
.long 0x7E580308
.long 0x7E5A0309
.long 0x7E5C030A
.long 0x7E5E030B
.long 0x9246FF24, 0x00000074
.long 0x80104610
.long 0x82118011
.long 0xE07C1000, 0x8004280D
.long 0xE07C1010, 0x80042C0D
.long 0xD0CC0030, 0x0001003E
.long 0xD1000020, 0x00C240F2
.long 0xD1000021, 0x00C242F2
.long 0xD3B14030, 0x18026120
.long 0xD0CC0030, 0x0001003E
.long 0xD1000022, 0x00C244F2
.long 0xD1000023, 0x00C246F2
.long 0xD3B14032, 0x18026522
.long 0xD0CC0030, 0x0001003E
.long 0xD1000024, 0x00C248F2
.long 0xD1000025, 0x00C24AF2
.long 0xD3B14034, 0x18026924
.long 0xD0CC0030, 0x0001003E
.long 0xD1000026, 0x00C24CF2
.long 0xD1000027, 0x00C24EF2
.long 0xD3B14036, 0x18026D26
.long 0xD3B24004, 0x18026118
.long 0xD3B24006, 0x1802651A
.long 0xD3B24008, 0x1802691C
.long 0xD3B2400A, 0x18026D1E
.long 0xBEC41E3A
.long 0x7E600304
.long 0x7E620305
.long 0x7E640306
.long 0x7E660307
.long 0x7E680308
.long 0x7E6A0309
.long 0x7E6C030A
.long 0x7E6E030B
.long 0x8E468224
.long 0x80104610
.long 0x82118011
.long 0xE07C1000, 0x8004300D
.long 0xE07C1010, 0x8004340D
.long 0xD0CC0030, 0x0001003E
.long 0xD1000020, 0x00C240F2
.long 0xD1000021, 0x00C242F2
.long 0xD3B14038, 0x18027120
.long 0xD0CC0030, 0x0001003E
.long 0xD1000022, 0x00C244F2
.long 0xD1000023, 0x00C246F2
.long 0xD3B1403A, 0x18027522
.long 0xD0CC0030, 0x0001003E
.long 0xD1000024, 0x00C248F2
.long 0xD1000025, 0x00C24AF2
.long 0xD3B1403C, 0x18027924
.long 0xD0CC0030, 0x0001003E
.long 0xD1000026, 0x00C24CF2
.long 0xD1000027, 0x00C24EF2
.long 0xD3B1403E, 0x18027D26
.long 0xD3B24004, 0x18027118
.long 0xD3B24006, 0x1802751A
.long 0xD3B24008, 0x1802791C
.long 0xD3B2400A, 0x18027D1E
.long 0xBEC41E3A
.long 0x7E700304
.long 0x7E720305
.long 0x7E740306
.long 0x7E760307
.long 0x7E780308
.long 0x7E7A0309
.long 0x7E7C030A
.long 0x7E7E030B
.long 0x8E468224
	;; [unrolled: 34-line block ×3, first 2 shown]
.long 0x80104610
.long 0x82118011
.long 0xE07C1000, 0x8004400D
.long 0xE07C1010, 0x8004440D
.long 0xBF800000
.long 0x924602FF, 0x00000100
.long 0xD135000F, 0x00008D00
	;; [unrolled: 3-line block ×3, first 2 shown]
.long 0xE05C1000, 0x800F2010
.long 0xE05C1010, 0x800F2410
.long 0x7E5003C0
.long 0x7E5203C4
	;; [unrolled: 1-line block ×34, first 2 shown]
.long 0xD0CC0030, 0x0001003E
.long 0xD1000020, 0x00C240F2
	;; [unrolled: 1-line block ×20, first 2 shown]
.long 0xBEC41E3A
.long 0x7E500304
	;; [unrolled: 1-line block ×9, first 2 shown]
.long 0x9246FF24, 0x00000074
.long 0x80104610
.long 0x82118011
.long 0xE07C1000, 0x8004280D
.long 0xE07C1010, 0x80042C0D
.long 0xD0CC0030, 0x0001003E
.long 0xD1000020, 0x00C240F2
.long 0xD1000021, 0x00C242F2
.long 0xD3B14030, 0x18026120
.long 0xD0CC0030, 0x0001003E
.long 0xD1000022, 0x00C244F2
.long 0xD1000023, 0x00C246F2
.long 0xD3B14032, 0x18026522
.long 0xD0CC0030, 0x0001003E
.long 0xD1000024, 0x00C248F2
.long 0xD1000025, 0x00C24AF2
.long 0xD3B14034, 0x18026924
.long 0xD0CC0030, 0x0001003E
.long 0xD1000026, 0x00C24CF2
.long 0xD1000027, 0x00C24EF2
.long 0xD3B14036, 0x18026D26
.long 0xD3B24004, 0x18026118
.long 0xD3B24006, 0x1802651A
.long 0xD3B24008, 0x1802691C
.long 0xD3B2400A, 0x18026D1E
.long 0xBEC41E3A
.long 0x7E600304
.long 0x7E620305
.long 0x7E640306
.long 0x7E660307
.long 0x7E680308
.long 0x7E6A0309
.long 0x7E6C030A
.long 0x7E6E030B
.long 0x8E468224
.long 0x80104610
.long 0x82118011
.long 0xE07C1000, 0x8004300D
.long 0xE07C1010, 0x8004340D
.long 0xD0CC0030, 0x0001003E
.long 0xD1000020, 0x00C240F2
.long 0xD1000021, 0x00C242F2
.long 0xD3B14038, 0x18027120
.long 0xD0CC0030, 0x0001003E
.long 0xD1000022, 0x00C244F2
.long 0xD1000023, 0x00C246F2
.long 0xD3B1403A, 0x18027522
.long 0xD0CC0030, 0x0001003E
.long 0xD1000024, 0x00C248F2
.long 0xD1000025, 0x00C24AF2
.long 0xD3B1403C, 0x18027924
.long 0xD0CC0030, 0x0001003E
.long 0xD1000026, 0x00C24CF2
.long 0xD1000027, 0x00C24EF2
.long 0xD3B1403E, 0x18027D26
.long 0xD3B24004, 0x18027118
.long 0xD3B24006, 0x1802751A
.long 0xD3B24008, 0x1802791C
.long 0xD3B2400A, 0x18027D1E
.long 0xBEC41E3A
.long 0x7E700304
.long 0x7E720305
.long 0x7E740306
.long 0x7E760307
.long 0x7E780308
.long 0x7E7A0309
.long 0x7E7C030A
.long 0x7E7E030B
.long 0x8E468224
	;; [unrolled: 34-line block ×3, first 2 shown]
.long 0x80104610
.long 0x82118011
.long 0xE07C1000, 0x8004400D
.long 0xE07C1010, 0x8004440D
.long 0xBF800000
.long 0x924602FF, 0x00000100
.long 0xD135000F, 0x00008D00
	;; [unrolled: 3-line block ×3, first 2 shown]
.long 0xE05C1000, 0x800F2010
.long 0xE05C1010, 0x800F2410
.long 0x7E5003E0
.long 0x7E5203E4
	;; [unrolled: 1-line block ×34, first 2 shown]
.long 0xD0CC0030, 0x0001003E
.long 0xD1000020, 0x00C240F2
	;; [unrolled: 1-line block ×20, first 2 shown]
.long 0xBEC41E3A
.long 0x7E500304
	;; [unrolled: 1-line block ×9, first 2 shown]
.long 0x9246FF24, 0x00000074
.long 0x80104610
.long 0x82118011
.long 0xE07C1000, 0x8004280D
.long 0xE07C1010, 0x80042C0D
.long 0xD0CC0030, 0x0001003E
.long 0xD1000020, 0x00C240F2
.long 0xD1000021, 0x00C242F2
.long 0xD3B14030, 0x18026120
.long 0xD0CC0030, 0x0001003E
.long 0xD1000022, 0x00C244F2
.long 0xD1000023, 0x00C246F2
.long 0xD3B14032, 0x18026522
.long 0xD0CC0030, 0x0001003E
.long 0xD1000024, 0x00C248F2
.long 0xD1000025, 0x00C24AF2
.long 0xD3B14034, 0x18026924
.long 0xD0CC0030, 0x0001003E
.long 0xD1000026, 0x00C24CF2
.long 0xD1000027, 0x00C24EF2
.long 0xD3B14036, 0x18026D26
.long 0xD3B24004, 0x18026118
.long 0xD3B24006, 0x1802651A
.long 0xD3B24008, 0x1802691C
.long 0xD3B2400A, 0x18026D1E
.long 0xBEC41E3A
.long 0x7E600304
.long 0x7E620305
.long 0x7E640306
.long 0x7E660307
.long 0x7E680308
.long 0x7E6A0309
.long 0x7E6C030A
.long 0x7E6E030B
.long 0x8E468224
.long 0x80104610
.long 0x82118011
.long 0xE07C1000, 0x8004300D
.long 0xE07C1010, 0x8004340D
.long 0xD0CC0030, 0x0001003E
.long 0xD1000020, 0x00C240F2
.long 0xD1000021, 0x00C242F2
.long 0xD3B14038, 0x18027120
.long 0xD0CC0030, 0x0001003E
.long 0xD1000022, 0x00C244F2
.long 0xD1000023, 0x00C246F2
.long 0xD3B1403A, 0x18027522
.long 0xD0CC0030, 0x0001003E
.long 0xD1000024, 0x00C248F2
.long 0xD1000025, 0x00C24AF2
.long 0xD3B1403C, 0x18027924
.long 0xD0CC0030, 0x0001003E
.long 0xD1000026, 0x00C24CF2
.long 0xD1000027, 0x00C24EF2
.long 0xD3B1403E, 0x18027D26
.long 0xD3B24004, 0x18027118
.long 0xD3B24006, 0x1802751A
.long 0xD3B24008, 0x1802791C
.long 0xD3B2400A, 0x18027D1E
.long 0xBEC41E3A
.long 0x7E700304
.long 0x7E720305
.long 0x7E740306
.long 0x7E760307
.long 0x7E780308
.long 0x7E7A0309
.long 0x7E7C030A
.long 0x7E7E030B
.long 0x8E468224
	;; [unrolled: 34-line block ×3, first 2 shown]
.long 0x80104610
.long 0x82118011
.long 0xE07C1000, 0x8004400D
.long 0xE07C1010, 0x8004440D
.long 0xBF800000
.long 0xBF820000
	;; [unrolled: 1-line block ×4, first 2 shown]
.long 0xD3CD8000, 0x04020130
.long 0xD9FE2000, 0x14000086
	;; [unrolled: 1-line block ×98, first 2 shown]
.long 0xBF8CCB7F
.long 0xD1ED008A, 0x00F2291C
.long 0xD1ED008B, 0x00F2492C
	;; [unrolled: 1-line block ×21, first 2 shown]
.long 0xBF8CC07F
.long 0xD3CD8000, 0x04031546
.long 0xD3CD8004, 0x04131946
	;; [unrolled: 1-line block ×88, first 2 shown]
.long 0x860B1B9F
.long 0xBF070908
	;; [unrolled: 1-line block ×6, first 2 shown]
.long 0xE0901000, 0x800C605E
.long 0xE0941002, 0x800C005E
.long 0xBF8C0F70
.long 0x28C00160
.long 0xE0901004, 0x800C615E
.long 0xE0941006, 0x800C005E
.long 0xBF8C0F70
.long 0x28C20161
	;; [unrolled: 4-line block ×38, first 2 shown]
.long 0xBF8C0F70
.long 0xBF8A0000
.long 0xD89A0000, 0x0000605C
.long 0xD89A0200, 0x0000625C
	;; [unrolled: 1-line block ×19, first 2 shown]
.long 0xBF8CC07F
.long 0xBF8A0000
.long 0xD9FE0000, 0x10000086
.long 0xD9FE0200, 0x18000086
.long 0xD9FE0400, 0x20000086
.long 0xD9FE0600, 0x28000086
.long 0xD8EC0000, 0x30000087
.long 0xD8EC0880, 0x32000087
.long 0xD8EC1100, 0x34000087
.long 0xD8EC1980, 0x36000087
.long 0xD8EC2200, 0x38000087
.long 0xD8EC2A80, 0x3A000087
.long 0xD8EC3300, 0x3C000087
.long 0xD8EC3B80, 0x3E000087
.long 0xD8EC4400, 0x40000087
.long 0xD8EC4C80, 0x42000087
.long 0xD8EC5500, 0x44000087
.long 0xBE8500FF, 0x00002000
.long 0x330D0C05
.long 0xBE8500A0
	;; [unrolled: 1-line block ×4, first 2 shown]
.long 0xD1ED0000, 0x00F22118
.long 0xD1ED0001, 0x00F24128
	;; [unrolled: 1-line block ×16, first 2 shown]
.long 0x26B910BF
.long 0x20B8B884
	;; [unrolled: 1-line block ×3, first 2 shown]
.long 0xD0C60050, 0x0000175C
.long 0xD1000000, 0x01410100
	;; [unrolled: 1-line block ×39, first 2 shown]
.long 0x6AB8B80B
.long 0xD0C10050, 0x0001095C
.long 0x8652830B
.long 0x80D25284
	;; [unrolled: 1-line block ×3, first 2 shown]
.long 0xD28F005E, 0x00020052
.long 0xD1000000, 0x0142BD00
	;; [unrolled: 1-line block ×57, first 2 shown]
.long 0xBF800001
.long 0xD3CD8000, 0x04020130
.long 0xD3CD8004, 0x04120530
	;; [unrolled: 1-line block ×88, first 2 shown]
.long 0x818B900B
.long 0x800C900C
	;; [unrolled: 1-line block ×8, first 2 shown]
.long 0xC00E0C00, 0x00000058
.long 0xC0020E00, 0x00000078
.long 0xBF820008
.long 0xC00A0C03, 0x00000090
.long 0xC0060D03, 0x000000A0
	;; [unrolled: 1-line block ×4, first 2 shown]
.long 0x20091086
.long 0x200A0881
.long 0xD2850005, 0x00020A90
.long 0x260310BF
.long 0x20020284
	;; [unrolled: 1-line block ×3, first 2 shown]
.long 0xD1FE0001, 0x02020305
.long 0xD2850002, 0x00004D01
	;; [unrolled: 1-line block ×3, first 2 shown]
.long 0x26000881
.long 0xD2850000, 0x00020090
.long 0x260B108F
.long 0xD1FE0000, 0x020E0105
.long 0x920502FF, 0x00000100
.long 0x68000005
.long 0x920503FF, 0x00000160
.long 0x68020205
.long 0xBF8CC07F
	;; [unrolled: 1-line block ×4, first 2 shown]
.long 0x864418FF, 0x000000FF
.long 0x80450DC1
.long 0xBF094502
	;; [unrolled: 1-line block ×6, first 2 shown]
.long 0x924619FF, 0x00000174
.long 0x8EC69046
.long 0x9245FF19, 0x00005D18
.long 0x80464645
.long 0x82478047
	;; [unrolled: 1-line block ×4, first 2 shown]
.long 0x9246FF45, 0x00000160
.long 0x80C44619
.long 0x80450EC1
	;; [unrolled: 1-line block ×6, first 2 shown]
.long 0xD1FE0006, 0x020A0103
.long 0xD3D84008, 0x18000100
	;; [unrolled: 1-line block ×129, first 2 shown]
.long 0xBF800001
.long 0xE07C1000, 0x80040806
.long 0xE07C1010, 0x80040C06
.long 0x8E3A8224
.long 0x80103A10
.long 0x82118011
.long 0xE07C1000, 0x80041006
.long 0xE07C1010, 0x80041406
.long 0x8E3A8224
.long 0x80103A10
.long 0x82118011
.long 0xE07C1000, 0x80041806
.long 0xE07C1010, 0x80041C06
.long 0x8E3A8224
.long 0x80103A10
.long 0x82118011
.long 0xE07C1000, 0x80042006
.long 0xE07C1010, 0x80042406
.long 0x923AFF24, 0x00000074
.long 0x80103A10
.long 0x82118011
.long 0xE07C1000, 0x80042806
.long 0xE07C1010, 0x80042C06
.long 0x8E3A8224
.long 0x80103A10
.long 0x82118011
.long 0xE07C1000, 0x80043006
.long 0xE07C1010, 0x80043406
.long 0x8E3A8224
.long 0x80103A10
.long 0x82118011
.long 0xE07C1000, 0x80043806
.long 0xE07C1010, 0x80043C06
.long 0x8E3A8224
.long 0x80103A10
.long 0x82118011
.long 0xE07C1000, 0x80044006
.long 0xE07C1010, 0x80044406
.long 0x923AFF24, 0x00000074
.long 0x80103A10
.long 0x82118011
.long 0xE07C1000, 0x80044806
.long 0xE07C1010, 0x80044C06
.long 0x8E3A8224
.long 0x80103A10
.long 0x82118011
.long 0xE07C1000, 0x80045006
.long 0xE07C1010, 0x80045406
.long 0x8E3A8224
.long 0x80103A10
.long 0x82118011
.long 0xE07C1000, 0x80045806
.long 0xE07C1010, 0x80045C06
.long 0x8E3A8224
.long 0x80103A10
.long 0x82118011
.long 0xE07C1000, 0x80046006
.long 0xE07C1010, 0x80046406
.long 0x923AFF24, 0x00000074
.long 0x80103A10
.long 0x82118011
.long 0xE07C1000, 0x80046806
.long 0xE07C1010, 0x80046C06
.long 0x8E3A8224
.long 0x80103A10
.long 0x82118011
.long 0xE07C1000, 0x80047006
.long 0xE07C1010, 0x80047406
.long 0x8E3A8224
.long 0x80103A10
	;; [unrolled: 5-line block ×3, first 2 shown]
.long 0x82118011
.long 0xE07C1000, 0x80048006
.long 0xE07C1010, 0x80048406
.long 0xBF800000
.long 0xD3D84008, 0x18000180
.long 0xD3D84009, 0x18000184
.long 0xD3D8400A, 0x18000188
.long 0xD3D8400B, 0x1800018C
.long 0xD3D8400C, 0x18000190
.long 0xD3D8400D, 0x18000194
.long 0xD3D8400E, 0x18000198
.long 0xD3D8400F, 0x1800019C
.long 0xD3D84010, 0x18000181
.long 0xD3D84011, 0x18000185
.long 0xD3D84012, 0x18000189
.long 0xD3D84013, 0x1800018D
.long 0xD3D84014, 0x18000191
.long 0xD3D84015, 0x18000195
.long 0xD3D84016, 0x18000199
.long 0xD3D84017, 0x1800019D
.long 0xD3D84018, 0x18000182
.long 0xD3D84019, 0x18000186
.long 0xD3D8401A, 0x1800018A
.long 0xD3D8401B, 0x1800018E
.long 0xD3D8401C, 0x18000192
.long 0xD3D8401D, 0x18000196
.long 0xD3D8401E, 0x1800019A
.long 0xD3D8401F, 0x1800019E
.long 0xD3D84020, 0x18000183
.long 0xD3D84021, 0x18000187
.long 0xD3D84022, 0x1800018B
.long 0xD3D84023, 0x1800018F
.long 0xD3D84024, 0x18000193
.long 0xD3D84025, 0x18000197
.long 0xD3D84026, 0x1800019B
.long 0xD3D84027, 0x1800019F
.long 0xD3D84028, 0x180001A0
.long 0xD3D84029, 0x180001A4
.long 0xD3D8402A, 0x180001A8
.long 0xD3D8402B, 0x180001AC
.long 0xD3D8402C, 0x180001B0
.long 0xD3D8402D, 0x180001B4
.long 0xD3D8402E, 0x180001B8
.long 0xD3D8402F, 0x180001BC
.long 0xD3D84030, 0x180001A1
.long 0xD3D84031, 0x180001A5
.long 0xD3D84032, 0x180001A9
.long 0xD3D84033, 0x180001AD
.long 0xD3D84034, 0x180001B1
.long 0xD3D84035, 0x180001B5
.long 0xD3D84036, 0x180001B9
.long 0xD3D84037, 0x180001BD
.long 0xD3D84038, 0x180001A2
.long 0xD3D84039, 0x180001A6
.long 0xD3D8403A, 0x180001AA
.long 0xD3D8403B, 0x180001AE
.long 0xD3D8403C, 0x180001B2
.long 0xD3D8403D, 0x180001B6
.long 0xD3D8403E, 0x180001BA
.long 0xD3D8403F, 0x180001BE
.long 0xD3D84040, 0x180001A3
.long 0xD3D84041, 0x180001A7
.long 0xD3D84042, 0x180001AB
.long 0xD3D84043, 0x180001AF
.long 0xD3D84044, 0x180001B3
.long 0xD3D84045, 0x180001B7
.long 0xD3D84046, 0x180001BB
.long 0xD3D84047, 0x180001BF
.long 0xD3D84048, 0x180001C0
.long 0xD3D84049, 0x180001C4
.long 0xD3D8404A, 0x180001C8
.long 0xD3D8404B, 0x180001CC
.long 0xD3D8404C, 0x180001D0
.long 0xD3D8404D, 0x180001D4
.long 0xD3D8404E, 0x180001D8
.long 0xD3D8404F, 0x180001DC
.long 0xD3D84050, 0x180001C1
.long 0xD3D84051, 0x180001C5
.long 0xD3D84052, 0x180001C9
.long 0xD3D84053, 0x180001CD
.long 0xD3D84054, 0x180001D1
.long 0xD3D84055, 0x180001D5
.long 0xD3D84056, 0x180001D9
.long 0xD3D84057, 0x180001DD
.long 0xD3D84058, 0x180001C2
.long 0xD3D84059, 0x180001C6
.long 0xD3D8405A, 0x180001CA
.long 0xD3D8405B, 0x180001CE
.long 0xD3D8405C, 0x180001D2
.long 0xD3D8405D, 0x180001D6
.long 0xD3D8405E, 0x180001DA
.long 0xD3D8405F, 0x180001DE
.long 0xD3D84060, 0x180001C3
.long 0xD3D84061, 0x180001C7
.long 0xD3D84062, 0x180001CB
.long 0xD3D84063, 0x180001CF
.long 0xD3D84064, 0x180001D3
.long 0xD3D84065, 0x180001D7
.long 0xD3D84066, 0x180001DB
.long 0xD3D84067, 0x180001DF
.long 0xD3D84068, 0x180001E0
.long 0xD3D84069, 0x180001E4
.long 0xD3D8406A, 0x180001E8
.long 0xD3D8406B, 0x180001EC
.long 0xD3D8406C, 0x180001F0
.long 0xD3D8406D, 0x180001F4
.long 0xD3D8406E, 0x180001F8
.long 0xD3D8406F, 0x180001FC
.long 0xD3D84070, 0x180001E1
.long 0xD3D84071, 0x180001E5
.long 0xD3D84072, 0x180001E9
.long 0xD3D84073, 0x180001ED
.long 0xD3D84074, 0x180001F1
.long 0xD3D84075, 0x180001F5
.long 0xD3D84076, 0x180001F9
.long 0xD3D84077, 0x180001FD
.long 0xD3D84078, 0x180001E2
.long 0xD3D84079, 0x180001E6
.long 0xD3D8407A, 0x180001EA
.long 0xD3D8407B, 0x180001EE
.long 0xD3D8407C, 0x180001F2
.long 0xD3D8407D, 0x180001F6
.long 0xD3D8407E, 0x180001FA
.long 0xD3D8407F, 0x180001FE
.long 0xD3D84080, 0x180001E3
.long 0xD3D84081, 0x180001E7
.long 0xD3D84082, 0x180001EB
.long 0xD3D84083, 0x180001EF
.long 0xD3D84084, 0x180001F3
.long 0xD3D84085, 0x180001F7
.long 0xD3D84086, 0x180001FB
.long 0xD3D84087, 0x180001FF
.long 0xBF800001
.long 0x923AFF24, 0x00000074
.long 0x80103A10
.long 0x82118011
.long 0xE07C1000, 0x80040806
.long 0xE07C1010, 0x80040C06
.long 0x8E3A8224
.long 0x80103A10
.long 0x82118011
.long 0xE07C1000, 0x80041006
.long 0xE07C1010, 0x80041406
.long 0x8E3A8224
.long 0x80103A10
.long 0x82118011
.long 0xE07C1000, 0x80041806
.long 0xE07C1010, 0x80041C06
.long 0x8E3A8224
.long 0x80103A10
.long 0x82118011
.long 0xE07C1000, 0x80042006
.long 0xE07C1010, 0x80042406
.long 0x923AFF24, 0x00000074
.long 0x80103A10
.long 0x82118011
.long 0xE07C1000, 0x80042806
.long 0xE07C1010, 0x80042C06
.long 0x8E3A8224
.long 0x80103A10
.long 0x82118011
.long 0xE07C1000, 0x80043006
.long 0xE07C1010, 0x80043406
.long 0x8E3A8224
.long 0x80103A10
.long 0x82118011
.long 0xE07C1000, 0x80043806
.long 0xE07C1010, 0x80043C06
.long 0x8E3A8224
.long 0x80103A10
.long 0x82118011
.long 0xE07C1000, 0x80044006
.long 0xE07C1010, 0x80044406
	;; [unrolled: 20-line block ×4, first 2 shown]
.long 0xBF800000
.long 0x7E1003A0
	;; [unrolled: 1-line block ×98, first 2 shown]
.long 0x923AFF24, 0x00000074
.long 0x80103A10
.long 0x82118011
.long 0xE07C1000, 0x80040806
.long 0xE07C1010, 0x80040C06
.long 0x8E3A8224
.long 0x80103A10
.long 0x82118011
.long 0xE07C1000, 0x80041006
.long 0xE07C1010, 0x80041406
.long 0x8E3A8224
.long 0x80103A10
.long 0x82118011
.long 0xE07C1000, 0x80041806
.long 0xE07C1010, 0x80041C06
.long 0x8E3A8224
.long 0x80103A10
.long 0x82118011
.long 0xE07C1000, 0x80042006
.long 0xE07C1010, 0x80042406
.long 0x923AFF24, 0x00000074
.long 0x80103A10
.long 0x82118011
.long 0xE07C1000, 0x80042806
.long 0xE07C1010, 0x80042C06
.long 0x8E3A8224
.long 0x80103A10
.long 0x82118011
.long 0xE07C1000, 0x80043006
.long 0xE07C1010, 0x80043406
.long 0x8E3A8224
.long 0x80103A10
.long 0x82118011
.long 0xE07C1000, 0x80043806
.long 0xE07C1010, 0x80043C06
.long 0x8E3A8224
.long 0x80103A10
.long 0x82118011
.long 0xE07C1000, 0x80044006
.long 0xE07C1010, 0x80044406
	;; [unrolled: 20-line block ×3, first 2 shown]
.long 0xBF800000
.long 0xBF8205C3
.long 0x7EC802FF, 0x80000000
.long 0xD0C90044, 0x00003100
.long 0xD0C90048, 0x00003301
.long 0x86C84844
.long 0xD1FE0006, 0x020A0103
.long 0xD1000006, 0x01220D64
.long 0xD1196A01, 0x00010301
.long 0xD1340002, 0x00004D02
.long 0xD1340003, 0x00004903
.long 0xD0C90044, 0x00003100
.long 0xD0C90048, 0x00003301
.long 0x86C84844
.long 0xD1FE0007, 0x020A0103
.long 0xD1000007, 0x01220F64
.long 0xD1196A01, 0x00010301
.long 0xD1340002, 0x00004D02
.long 0xD1340003, 0x00004903
.long 0xD0C90044, 0x00003100
.long 0xD0C90048, 0x00003301
.long 0x86C84844
.long 0xD1FE0018, 0x020A0103
.long 0xD1000018, 0x01223164
.long 0xD1196A01, 0x00010301
.long 0xD1340002, 0x00004D02
.long 0xD1340003, 0x00004903
.long 0xD0C90044, 0x00003100
.long 0xD0C90048, 0x00003301
.long 0x86C84844
.long 0xD1FE0019, 0x020A0103
.long 0xD1000019, 0x01223364
.long 0xD1196A01, 0x00013B01
.long 0x92449D26
.long 0xD1340002, 0x00008902
.long 0x92449D24
.long 0xD1340003, 0x00008903
.long 0xD0C90044, 0x00003100
.long 0xD0C90048, 0x00003301
.long 0x86C84844
.long 0xD1FE001A, 0x020A0103
.long 0xD100001A, 0x01223564
.long 0xD1196A01, 0x00010301
.long 0xD1340002, 0x00004D02
.long 0xD1340003, 0x00004903
.long 0xD0C90044, 0x00003100
.long 0xD0C90048, 0x00003301
.long 0x86C84844
.long 0xD1FE001B, 0x020A0103
.long 0xD100001B, 0x01223764
.long 0xD1196A01, 0x00010301
.long 0xD1340002, 0x00004D02
.long 0xD1340003, 0x00004903
.long 0xD0C90044, 0x00003100
.long 0xD0C90048, 0x00003301
.long 0x86C84844
.long 0xD1FE001C, 0x020A0103
.long 0xD100001C, 0x01223964
.long 0xD1196A01, 0x00010301
.long 0xD1340002, 0x00004D02
.long 0xD1340003, 0x00004903
.long 0xD0C90044, 0x00003100
.long 0xD0C90048, 0x00003301
.long 0x86C84844
.long 0xD1FE001D, 0x020A0103
.long 0xD100001D, 0x01223B64
.long 0xD1196A01, 0x00013B01
.long 0x92449D26
.long 0xD1340002, 0x00008902
	;; [unrolled: 34-line block ×3, first 2 shown]
.long 0x92449D24
.long 0xD1340003, 0x00008903
.long 0xD0C90044, 0x00003100
	;; [unrolled: 1-line block ×3, first 2 shown]
.long 0x86C84844
.long 0xD1FE0062, 0x020A0103
.long 0xD1000062, 0x0122C564
	;; [unrolled: 1-line block ×7, first 2 shown]
.long 0x86C84844
.long 0xD1FE0063, 0x020A0103
.long 0xD1000063, 0x0122C764
	;; [unrolled: 1-line block ×114, first 2 shown]
.long 0xBF800001
.long 0xE07C1000, 0x80040806
.long 0xE07C1010, 0x80040C06
	;; [unrolled: 1-line block ×28, first 2 shown]
.long 0xBF800000
.long 0x7EC802FF, 0x80000000
.long 0xD1196A01, 0x00010301
.long 0xD1340002, 0x00004D02
.long 0xD1340003, 0x00004903
.long 0xD0C90044, 0x00003100
.long 0xD0C90048, 0x00003301
.long 0x86C84844
.long 0xD1FE0006, 0x020A0103
.long 0xD1000006, 0x01220D64
.long 0xD1196A01, 0x00010301
.long 0xD1340002, 0x00004D02
.long 0xD1340003, 0x00004903
.long 0xD0C90044, 0x00003100
.long 0xD0C90048, 0x00003301
.long 0x86C84844
.long 0xD1FE0007, 0x020A0103
.long 0xD1000007, 0x01220F64
.long 0xD1196A01, 0x00013B01
.long 0x92449D26
.long 0xD1340002, 0x00008902
.long 0x92449D24
.long 0xD1340003, 0x00008903
.long 0xD0C90044, 0x00003100
.long 0xD0C90048, 0x00003301
.long 0x86C84844
.long 0xD1FE0018, 0x020A0103
.long 0xD1000018, 0x01223164
.long 0xD1196A01, 0x00010301
.long 0xD1340002, 0x00004D02
.long 0xD1340003, 0x00004903
.long 0xD0C90044, 0x00003100
.long 0xD0C90048, 0x00003301
.long 0x86C84844
.long 0xD1FE0019, 0x020A0103
.long 0xD1000019, 0x01223364
.long 0xD1196A01, 0x00010301
.long 0xD1340002, 0x00004D02
.long 0xD1340003, 0x00004903
.long 0xD0C90044, 0x00003100
.long 0xD0C90048, 0x00003301
.long 0x86C84844
.long 0xD1FE001A, 0x020A0103
.long 0xD100001A, 0x01223564
.long 0xD1196A01, 0x00010301
.long 0xD1340002, 0x00004D02
.long 0xD1340003, 0x00004903
.long 0xD0C90044, 0x00003100
.long 0xD0C90048, 0x00003301
.long 0x86C84844
.long 0xD1FE001B, 0x020A0103
.long 0xD100001B, 0x01223764
.long 0xD1196A01, 0x00013B01
.long 0x92449D26
.long 0xD1340002, 0x00008902
.long 0x92449D24
.long 0xD1340003, 0x00008903
.long 0xD0C90044, 0x00003100
.long 0xD0C90048, 0x00003301
.long 0x86C84844
.long 0xD1FE001C, 0x020A0103
.long 0xD100001C, 0x01223964
.long 0xD1196A01, 0x00010301
.long 0xD1340002, 0x00004D02
.long 0xD1340003, 0x00004903
.long 0xD0C90044, 0x00003100
.long 0xD0C90048, 0x00003301
.long 0x86C84844
.long 0xD1FE001D, 0x020A0103
	;; [unrolled: 34-line block ×3, first 2 shown]
.long 0xD1000061, 0x0122C364
.long 0xD1196A01, 0x00010301
	;; [unrolled: 1-line block ×6, first 2 shown]
.long 0x86C84844
.long 0xD1FE0062, 0x020A0103
.long 0xD1000062, 0x0122C564
	;; [unrolled: 1-line block ×7, first 2 shown]
.long 0x86C84844
.long 0xD1FE0063, 0x020A0103
.long 0xD1000063, 0x0122C764
	;; [unrolled: 1-line block ×114, first 2 shown]
.long 0xBF800001
.long 0xE07C1000, 0x80040806
.long 0xE07C1010, 0x80040C06
	;; [unrolled: 1-line block ×28, first 2 shown]
.long 0xBF800000
.long 0x7EC802FF, 0x80000000
.long 0xD1196A01, 0x00013B01
.long 0x92449D26
.long 0xD1340002, 0x00008902
.long 0x92449D24
.long 0xD1340003, 0x00008903
.long 0xD0C90044, 0x00003100
.long 0xD0C90048, 0x00003301
.long 0x86C84844
.long 0xD1FE0006, 0x020A0103
.long 0xD1000006, 0x01220D64
.long 0xD1196A01, 0x00010301
.long 0xD1340002, 0x00004D02
.long 0xD1340003, 0x00004903
.long 0xD0C90044, 0x00003100
.long 0xD0C90048, 0x00003301
.long 0x86C84844
.long 0xD1FE0007, 0x020A0103
.long 0xD1000007, 0x01220F64
.long 0xD1196A01, 0x00010301
.long 0xD1340002, 0x00004D02
.long 0xD1340003, 0x00004903
.long 0xD0C90044, 0x00003100
.long 0xD0C90048, 0x00003301
.long 0x86C84844
.long 0xD1FE0018, 0x020A0103
.long 0xD1000018, 0x01223164
.long 0xD1196A01, 0x00010301
.long 0xD1340002, 0x00004D02
.long 0xD1340003, 0x00004903
.long 0xD0C90044, 0x00003100
.long 0xD0C90048, 0x00003301
.long 0x86C84844
.long 0xD1FE0019, 0x020A0103
.long 0xD1000019, 0x01223364
.long 0xD1196A01, 0x00013B01
.long 0x92449D26
.long 0xD1340002, 0x00008902
.long 0x92449D24
.long 0xD1340003, 0x00008903
.long 0xD0C90044, 0x00003100
.long 0xD0C90048, 0x00003301
.long 0x86C84844
.long 0xD1FE001A, 0x020A0103
.long 0xD100001A, 0x01223564
.long 0xD1196A01, 0x00010301
.long 0xD1340002, 0x00004D02
.long 0xD1340003, 0x00004903
.long 0xD0C90044, 0x00003100
.long 0xD0C90048, 0x00003301
.long 0x86C84844
.long 0xD1FE001B, 0x020A0103
.long 0xD100001B, 0x01223764
.long 0xD1196A01, 0x00010301
.long 0xD1340002, 0x00004D02
.long 0xD1340003, 0x00004903
.long 0xD0C90044, 0x00003100
.long 0xD0C90048, 0x00003301
.long 0x86C84844
.long 0xD1FE001C, 0x020A0103
.long 0xD100001C, 0x01223964
.long 0xD1196A01, 0x00010301
.long 0xD1340002, 0x00004D02
.long 0xD1340003, 0x00004903
.long 0xD0C90044, 0x00003100
.long 0xD0C90048, 0x00003301
.long 0x86C84844
.long 0xD1FE001D, 0x020A0103
	;; [unrolled: 34-line block ×3, first 2 shown]
.long 0xD1000061, 0x0122C364
.long 0xD1196A01, 0x00013B01
.long 0x92449D26
.long 0xD1340002, 0x00008902
.long 0x92449D24
.long 0xD1340003, 0x00008903
.long 0xD0C90044, 0x00003100
	;; [unrolled: 1-line block ×3, first 2 shown]
.long 0x86C84844
.long 0xD1FE0062, 0x020A0103
.long 0xD1000062, 0x0122C564
	;; [unrolled: 1-line block ×7, first 2 shown]
.long 0x86C84844
.long 0xD1FE0063, 0x020A0103
.long 0xD1000063, 0x0122C764
	;; [unrolled: 1-line block ×34, first 2 shown]
.long 0x7E6003A0
.long 0x7E6203A4
	;; [unrolled: 1-line block ×81, first 2 shown]
.long 0xE07C1000, 0x80040806
.long 0xE07C1010, 0x80040C06
	;; [unrolled: 1-line block ×28, first 2 shown]
.long 0xBF800000
.long 0x7E3002FF, 0x80000000
.long 0xD1196A01, 0x00010301
	;; [unrolled: 1-line block ×6, first 2 shown]
.long 0x86C84844
.long 0xD1FE0006, 0x020A0103
.long 0xD1000006, 0x01220D18
	;; [unrolled: 1-line block ×7, first 2 shown]
.long 0x86C84844
.long 0xD1FE0007, 0x020A0103
.long 0xD1000007, 0x01220F18
.long 0x7E1003E2
.long 0x7E1203E6
	;; [unrolled: 1-line block ×17, first 2 shown]
.long 0xE07C1000, 0x80040806
.long 0xE07C1010, 0x80040C06
	;; [unrolled: 1-line block ×4, first 2 shown]
.long 0xBF800000
.long 0xBF820000
	;; [unrolled: 1-line block ×3, first 2 shown]
.long 0x814684FF, 0x00012510
.long 0x80444644
.long 0x82458045
	;; [unrolled: 1-line block ×5, first 2 shown]
.long 0xBEBF00FF, 0x00020000
.long 0xBF128030
.long 0xBF840002
	;; [unrolled: 1-line block ×12, first 2 shown]
.long 0xBEC300FF, 0x00020000
.long 0xBF128032
.long 0xBF840002
	;; [unrolled: 1-line block ×8, first 2 shown]
.long 0x920502FF, 0x00000100
.long 0x68111005
.long 0x92050435
	;; [unrolled: 1-line block ×4, first 2 shown]
.long 0xE0501000, 0x80100408
.long 0x24111082
.long 0xBF8C0F70
.long 0xBF8A0000
.long 0xD81A0000, 0x00000408
.long 0xBF820012
.long 0xB4B40004
.long 0xBF850010
.long 0x92424282
.long 0x920502FF, 0x00000100
.long 0x68111005
	;; [unrolled: 5-line block ×4, first 2 shown]
.long 0xB4380001
.long 0xBF850014
	;; [unrolled: 1-line block ×17, first 2 shown]
.long 0x810584FF, 0x000123D4
.long 0x803A053A
.long 0x823B803B
.long 0xBF820030
.long 0xBEBA1C00
.long 0x810584FF, 0x000123C0
.long 0x803A053A
.long 0x823B803B
.long 0xBF82002A
.long 0xBEBA1C00
	;; [unrolled: 5-line block ×9, first 2 shown]
.long 0xBF841FA6
.long 0x864618FF, 0x000000FF
.long 0x80470DC1
.long 0xBF094702
	;; [unrolled: 1-line block ×6, first 2 shown]
.long 0x924819FF, 0x00000174
.long 0x8EC89048
.long 0x9247FF19, 0x00005D18
.long 0x80484847
.long 0x82498049
	;; [unrolled: 1-line block ×4, first 2 shown]
.long 0x9248FF47, 0x00000160
.long 0x80C64819
.long 0x80470EC1
	;; [unrolled: 1-line block ×6, first 2 shown]
.long 0x924602FF, 0x00000100
.long 0xD135000F, 0x00008D00
.long 0x241E1E82
.long 0xBF8CC07F
	;; [unrolled: 1-line block ×3, first 2 shown]
.long 0xD9FE0000, 0x1800000F
.long 0xD9FE0010, 0x1C00000F
.long 0x24200082
.long 0xE05C1000, 0x800F2010
.long 0xE05C1010, 0x800F2410
.long 0xD1FE000D, 0x020A0103
.long 0xD3D84028, 0x18000100
.long 0xD3D84029, 0x18000104
.long 0xD3D8402A, 0x18000108
.long 0xD3D8402B, 0x1800010C
.long 0xD3D8402C, 0x18000110
.long 0xD3D8402D, 0x18000114
.long 0xD3D8402E, 0x18000118
.long 0xD3D8402F, 0x1800011C
.long 0xD3D84030, 0x18000101
.long 0xD3D84031, 0x18000105
.long 0xD3D84032, 0x18000109
.long 0xD3D84033, 0x1800010D
.long 0xD3D84034, 0x18000111
.long 0xD3D84035, 0x18000115
.long 0xD3D84036, 0x18000119
.long 0xD3D84037, 0x1800011D
.long 0xD3D84038, 0x18000102
.long 0xD3D84039, 0x18000106
.long 0xD3D8403A, 0x1800010A
.long 0xD3D8403B, 0x1800010E
.long 0xD3D8403C, 0x18000112
.long 0xD3D8403D, 0x18000116
.long 0xD3D8403E, 0x1800011A
.long 0xD3D8403F, 0x1800011E
.long 0xD3D84040, 0x18000103
.long 0xD3D84041, 0x18000107
.long 0xD3D84042, 0x1800010B
.long 0xD3D84043, 0x1800010F
.long 0xD3D84044, 0x18000113
.long 0xD3D84045, 0x18000117
.long 0xD3D84046, 0x1800011B
.long 0xD3D84047, 0x1800011F
.long 0xBF800001
.long 0x0A50502C
	;; [unrolled: 1-line block ×34, first 2 shown]
.long 0xD0CC0030, 0x0001003E
.long 0xD1000020, 0x00C240F2
	;; [unrolled: 1-line block ×20, first 2 shown]
.long 0xBEC41E3A
.long 0x7E500304
.long 0x7E520305
.long 0x7E540306
.long 0x7E560307
.long 0x7E580308
.long 0x7E5A0309
.long 0x7E5C030A
.long 0x7E5E030B
.long 0xE07C1000, 0x8004280D
.long 0xE07C1010, 0x80042C0D
.long 0xD0CC0030, 0x0001003E
.long 0xD1000020, 0x00C240F2
.long 0xD1000021, 0x00C242F2
.long 0xD3B14030, 0x18026120
.long 0xD0CC0030, 0x0001003E
.long 0xD1000022, 0x00C244F2
.long 0xD1000023, 0x00C246F2
.long 0xD3B14032, 0x18026522
.long 0xD0CC0030, 0x0001003E
.long 0xD1000024, 0x00C248F2
.long 0xD1000025, 0x00C24AF2
.long 0xD3B14034, 0x18026924
.long 0xD0CC0030, 0x0001003E
.long 0xD1000026, 0x00C24CF2
.long 0xD1000027, 0x00C24EF2
.long 0xD3B14036, 0x18026D26
.long 0xD3B24004, 0x18026118
.long 0xD3B24006, 0x1802651A
.long 0xD3B24008, 0x1802691C
.long 0xD3B2400A, 0x18026D1E
.long 0xBEC41E3A
.long 0x7E600304
.long 0x7E620305
.long 0x7E640306
.long 0x7E660307
.long 0x7E680308
.long 0x7E6A0309
.long 0x7E6C030A
.long 0x7E6E030B
.long 0x8E468224
.long 0x80104610
.long 0x82118011
.long 0xE07C1000, 0x8004300D
.long 0xE07C1010, 0x8004340D
.long 0xD0CC0030, 0x0001003E
.long 0xD1000020, 0x00C240F2
.long 0xD1000021, 0x00C242F2
.long 0xD3B14038, 0x18027120
.long 0xD0CC0030, 0x0001003E
.long 0xD1000022, 0x00C244F2
.long 0xD1000023, 0x00C246F2
.long 0xD3B1403A, 0x18027522
.long 0xD0CC0030, 0x0001003E
.long 0xD1000024, 0x00C248F2
.long 0xD1000025, 0x00C24AF2
.long 0xD3B1403C, 0x18027924
.long 0xD0CC0030, 0x0001003E
.long 0xD1000026, 0x00C24CF2
.long 0xD1000027, 0x00C24EF2
.long 0xD3B1403E, 0x18027D26
.long 0xD3B24004, 0x18027118
.long 0xD3B24006, 0x1802751A
.long 0xD3B24008, 0x1802791C
.long 0xD3B2400A, 0x18027D1E
.long 0xBEC41E3A
.long 0x7E700304
.long 0x7E720305
	;; [unrolled: 34-line block ×3, first 2 shown]
.long 0x7E840306
.long 0x7E860307
	;; [unrolled: 1-line block ×9, first 2 shown]
.long 0xE07C1000, 0x8004400D
.long 0xE07C1010, 0x8004440D
.long 0xBF800000
.long 0x924602FF, 0x00000100
.long 0xD135000F, 0x00008D00
.long 0x241E1E82
.long 0xD9FE0000, 0x1800000F
.long 0xD9FE0010, 0x1C00000F
	;; [unrolled: 1-line block ×36, first 2 shown]
.long 0xBF800001
.long 0x0A50502C
	;; [unrolled: 1-line block ×34, first 2 shown]
.long 0xD0CC0030, 0x0001003E
.long 0xD1000020, 0x00C240F2
	;; [unrolled: 1-line block ×20, first 2 shown]
.long 0xBEC41E3A
.long 0x7E500304
	;; [unrolled: 1-line block ×9, first 2 shown]
.long 0x9246FF24, 0x00000074
.long 0x80104610
.long 0x82118011
.long 0xE07C1000, 0x8004280D
.long 0xE07C1010, 0x80042C0D
.long 0xD0CC0030, 0x0001003E
.long 0xD1000020, 0x00C240F2
.long 0xD1000021, 0x00C242F2
.long 0xD3B14030, 0x18026120
.long 0xD0CC0030, 0x0001003E
.long 0xD1000022, 0x00C244F2
.long 0xD1000023, 0x00C246F2
.long 0xD3B14032, 0x18026522
.long 0xD0CC0030, 0x0001003E
.long 0xD1000024, 0x00C248F2
.long 0xD1000025, 0x00C24AF2
.long 0xD3B14034, 0x18026924
.long 0xD0CC0030, 0x0001003E
.long 0xD1000026, 0x00C24CF2
.long 0xD1000027, 0x00C24EF2
.long 0xD3B14036, 0x18026D26
.long 0xD3B24004, 0x18026118
.long 0xD3B24006, 0x1802651A
.long 0xD3B24008, 0x1802691C
.long 0xD3B2400A, 0x18026D1E
.long 0xBEC41E3A
.long 0x7E600304
.long 0x7E620305
.long 0x7E640306
.long 0x7E660307
.long 0x7E680308
.long 0x7E6A0309
.long 0x7E6C030A
.long 0x7E6E030B
.long 0x8E468224
.long 0x80104610
.long 0x82118011
.long 0xE07C1000, 0x8004300D
.long 0xE07C1010, 0x8004340D
.long 0xD0CC0030, 0x0001003E
.long 0xD1000020, 0x00C240F2
.long 0xD1000021, 0x00C242F2
.long 0xD3B14038, 0x18027120
.long 0xD0CC0030, 0x0001003E
.long 0xD1000022, 0x00C244F2
.long 0xD1000023, 0x00C246F2
.long 0xD3B1403A, 0x18027522
.long 0xD0CC0030, 0x0001003E
.long 0xD1000024, 0x00C248F2
.long 0xD1000025, 0x00C24AF2
.long 0xD3B1403C, 0x18027924
.long 0xD0CC0030, 0x0001003E
.long 0xD1000026, 0x00C24CF2
.long 0xD1000027, 0x00C24EF2
.long 0xD3B1403E, 0x18027D26
.long 0xD3B24004, 0x18027118
.long 0xD3B24006, 0x1802751A
.long 0xD3B24008, 0x1802791C
.long 0xD3B2400A, 0x18027D1E
.long 0xBEC41E3A
.long 0x7E700304
.long 0x7E720305
.long 0x7E740306
.long 0x7E760307
.long 0x7E780308
.long 0x7E7A0309
.long 0x7E7C030A
.long 0x7E7E030B
.long 0x8E468224
	;; [unrolled: 34-line block ×3, first 2 shown]
.long 0x80104610
.long 0x82118011
.long 0xE07C1000, 0x8004400D
.long 0xE07C1010, 0x8004440D
.long 0xBF800000
.long 0x924602FF, 0x00000100
.long 0xD135000F, 0x00008D00
	;; [unrolled: 3-line block ×3, first 2 shown]
.long 0xE05C1000, 0x800F2010
.long 0xE05C1010, 0x800F2410
	;; [unrolled: 1-line block ×34, first 2 shown]
.long 0xBF800001
.long 0x0A50502C
	;; [unrolled: 1-line block ×34, first 2 shown]
.long 0xD0CC0030, 0x0001003E
.long 0xD1000020, 0x00C240F2
	;; [unrolled: 1-line block ×20, first 2 shown]
.long 0xBEC41E3A
.long 0x7E500304
	;; [unrolled: 1-line block ×9, first 2 shown]
.long 0x9246FF24, 0x00000074
.long 0x80104610
.long 0x82118011
.long 0xE07C1000, 0x8004280D
.long 0xE07C1010, 0x80042C0D
.long 0xD0CC0030, 0x0001003E
.long 0xD1000020, 0x00C240F2
.long 0xD1000021, 0x00C242F2
.long 0xD3B14030, 0x18026120
.long 0xD0CC0030, 0x0001003E
.long 0xD1000022, 0x00C244F2
.long 0xD1000023, 0x00C246F2
.long 0xD3B14032, 0x18026522
.long 0xD0CC0030, 0x0001003E
.long 0xD1000024, 0x00C248F2
.long 0xD1000025, 0x00C24AF2
.long 0xD3B14034, 0x18026924
.long 0xD0CC0030, 0x0001003E
.long 0xD1000026, 0x00C24CF2
.long 0xD1000027, 0x00C24EF2
.long 0xD3B14036, 0x18026D26
.long 0xD3B24004, 0x18026118
.long 0xD3B24006, 0x1802651A
.long 0xD3B24008, 0x1802691C
.long 0xD3B2400A, 0x18026D1E
.long 0xBEC41E3A
.long 0x7E600304
.long 0x7E620305
.long 0x7E640306
.long 0x7E660307
.long 0x7E680308
.long 0x7E6A0309
.long 0x7E6C030A
.long 0x7E6E030B
.long 0x8E468224
.long 0x80104610
.long 0x82118011
.long 0xE07C1000, 0x8004300D
.long 0xE07C1010, 0x8004340D
.long 0xD0CC0030, 0x0001003E
.long 0xD1000020, 0x00C240F2
.long 0xD1000021, 0x00C242F2
.long 0xD3B14038, 0x18027120
.long 0xD0CC0030, 0x0001003E
.long 0xD1000022, 0x00C244F2
.long 0xD1000023, 0x00C246F2
.long 0xD3B1403A, 0x18027522
.long 0xD0CC0030, 0x0001003E
.long 0xD1000024, 0x00C248F2
.long 0xD1000025, 0x00C24AF2
.long 0xD3B1403C, 0x18027924
.long 0xD0CC0030, 0x0001003E
.long 0xD1000026, 0x00C24CF2
.long 0xD1000027, 0x00C24EF2
.long 0xD3B1403E, 0x18027D26
.long 0xD3B24004, 0x18027118
.long 0xD3B24006, 0x1802751A
.long 0xD3B24008, 0x1802791C
.long 0xD3B2400A, 0x18027D1E
.long 0xBEC41E3A
.long 0x7E700304
.long 0x7E720305
.long 0x7E740306
.long 0x7E760307
.long 0x7E780308
.long 0x7E7A0309
.long 0x7E7C030A
.long 0x7E7E030B
.long 0x8E468224
	;; [unrolled: 34-line block ×3, first 2 shown]
.long 0x80104610
.long 0x82118011
.long 0xE07C1000, 0x8004400D
.long 0xE07C1010, 0x8004440D
.long 0xBF800000
.long 0x924602FF, 0x00000100
.long 0xD135000F, 0x00008D00
	;; [unrolled: 3-line block ×3, first 2 shown]
.long 0xE05C1000, 0x800F2010
.long 0xE05C1010, 0x800F2410
	;; [unrolled: 1-line block ×34, first 2 shown]
.long 0xBF800001
.long 0x0A50502C
	;; [unrolled: 1-line block ×34, first 2 shown]
.long 0xD0CC0030, 0x0001003E
.long 0xD1000020, 0x00C240F2
	;; [unrolled: 1-line block ×20, first 2 shown]
.long 0xBEC41E3A
.long 0x7E500304
.long 0x7E520305
.long 0x7E540306
.long 0x7E560307
.long 0x7E580308
.long 0x7E5A0309
.long 0x7E5C030A
.long 0x7E5E030B
.long 0x9246FF24, 0x00000074
.long 0x80104610
.long 0x82118011
.long 0xE07C1000, 0x8004280D
.long 0xE07C1010, 0x80042C0D
.long 0xD0CC0030, 0x0001003E
.long 0xD1000020, 0x00C240F2
.long 0xD1000021, 0x00C242F2
.long 0xD3B14030, 0x18026120
.long 0xD0CC0030, 0x0001003E
.long 0xD1000022, 0x00C244F2
.long 0xD1000023, 0x00C246F2
.long 0xD3B14032, 0x18026522
.long 0xD0CC0030, 0x0001003E
.long 0xD1000024, 0x00C248F2
.long 0xD1000025, 0x00C24AF2
.long 0xD3B14034, 0x18026924
.long 0xD0CC0030, 0x0001003E
.long 0xD1000026, 0x00C24CF2
.long 0xD1000027, 0x00C24EF2
.long 0xD3B14036, 0x18026D26
.long 0xD3B24004, 0x18026118
.long 0xD3B24006, 0x1802651A
.long 0xD3B24008, 0x1802691C
.long 0xD3B2400A, 0x18026D1E
.long 0xBEC41E3A
.long 0x7E600304
.long 0x7E620305
.long 0x7E640306
.long 0x7E660307
.long 0x7E680308
.long 0x7E6A0309
.long 0x7E6C030A
.long 0x7E6E030B
.long 0x8E468224
.long 0x80104610
.long 0x82118011
.long 0xE07C1000, 0x8004300D
.long 0xE07C1010, 0x8004340D
.long 0xD0CC0030, 0x0001003E
.long 0xD1000020, 0x00C240F2
.long 0xD1000021, 0x00C242F2
.long 0xD3B14038, 0x18027120
.long 0xD0CC0030, 0x0001003E
.long 0xD1000022, 0x00C244F2
.long 0xD1000023, 0x00C246F2
.long 0xD3B1403A, 0x18027522
.long 0xD0CC0030, 0x0001003E
.long 0xD1000024, 0x00C248F2
.long 0xD1000025, 0x00C24AF2
.long 0xD3B1403C, 0x18027924
.long 0xD0CC0030, 0x0001003E
.long 0xD1000026, 0x00C24CF2
.long 0xD1000027, 0x00C24EF2
.long 0xD3B1403E, 0x18027D26
.long 0xD3B24004, 0x18027118
.long 0xD3B24006, 0x1802751A
.long 0xD3B24008, 0x1802791C
.long 0xD3B2400A, 0x18027D1E
.long 0xBEC41E3A
.long 0x7E700304
.long 0x7E720305
.long 0x7E740306
.long 0x7E760307
.long 0x7E780308
.long 0x7E7A0309
.long 0x7E7C030A
.long 0x7E7E030B
.long 0x8E468224
	;; [unrolled: 34-line block ×3, first 2 shown]
.long 0x80104610
.long 0x82118011
.long 0xE07C1000, 0x8004400D
.long 0xE07C1010, 0x8004440D
.long 0xBF800000
.long 0x924602FF, 0x00000100
.long 0xD135000F, 0x00008D00
	;; [unrolled: 3-line block ×3, first 2 shown]
.long 0xE05C1000, 0x800F2010
.long 0xE05C1010, 0x800F2410
	;; [unrolled: 1-line block ×34, first 2 shown]
.long 0xBF800001
.long 0x0A50502C
	;; [unrolled: 1-line block ×34, first 2 shown]
.long 0xD0CC0030, 0x0001003E
.long 0xD1000020, 0x00C240F2
.long 0xD1000021, 0x00C242F2
.long 0xD3B14028, 0x18025120
.long 0xD0CC0030, 0x0001003E
.long 0xD1000022, 0x00C244F2
.long 0xD1000023, 0x00C246F2
.long 0xD3B1402A, 0x18025522
.long 0xD0CC0030, 0x0001003E
.long 0xD1000024, 0x00C248F2
.long 0xD1000025, 0x00C24AF2
.long 0xD3B1402C, 0x18025924
.long 0xD0CC0030, 0x0001003E
.long 0xD1000026, 0x00C24CF2
.long 0xD1000027, 0x00C24EF2
.long 0xD3B1402E, 0x18025D26
.long 0xD3B24004, 0x18025118
.long 0xD3B24006, 0x1802551A
.long 0xD3B24008, 0x1802591C
.long 0xD3B2400A, 0x18025D1E
.long 0xBEC41E3A
.long 0x7E500304
	;; [unrolled: 1-line block ×9, first 2 shown]
.long 0x9246FF24, 0x00000074
.long 0x80104610
.long 0x82118011
.long 0xE07C1000, 0x8004280D
.long 0xE07C1010, 0x80042C0D
.long 0xD0CC0030, 0x0001003E
.long 0xD1000020, 0x00C240F2
.long 0xD1000021, 0x00C242F2
.long 0xD3B14030, 0x18026120
.long 0xD0CC0030, 0x0001003E
.long 0xD1000022, 0x00C244F2
.long 0xD1000023, 0x00C246F2
.long 0xD3B14032, 0x18026522
.long 0xD0CC0030, 0x0001003E
.long 0xD1000024, 0x00C248F2
.long 0xD1000025, 0x00C24AF2
.long 0xD3B14034, 0x18026924
.long 0xD0CC0030, 0x0001003E
.long 0xD1000026, 0x00C24CF2
.long 0xD1000027, 0x00C24EF2
.long 0xD3B14036, 0x18026D26
.long 0xD3B24004, 0x18026118
.long 0xD3B24006, 0x1802651A
.long 0xD3B24008, 0x1802691C
.long 0xD3B2400A, 0x18026D1E
.long 0xBEC41E3A
.long 0x7E600304
.long 0x7E620305
.long 0x7E640306
.long 0x7E660307
.long 0x7E680308
.long 0x7E6A0309
.long 0x7E6C030A
.long 0x7E6E030B
.long 0x8E468224
.long 0x80104610
.long 0x82118011
.long 0xE07C1000, 0x8004300D
.long 0xE07C1010, 0x8004340D
.long 0xD0CC0030, 0x0001003E
.long 0xD1000020, 0x00C240F2
.long 0xD1000021, 0x00C242F2
.long 0xD3B14038, 0x18027120
.long 0xD0CC0030, 0x0001003E
.long 0xD1000022, 0x00C244F2
.long 0xD1000023, 0x00C246F2
.long 0xD3B1403A, 0x18027522
.long 0xD0CC0030, 0x0001003E
.long 0xD1000024, 0x00C248F2
.long 0xD1000025, 0x00C24AF2
.long 0xD3B1403C, 0x18027924
.long 0xD0CC0030, 0x0001003E
.long 0xD1000026, 0x00C24CF2
.long 0xD1000027, 0x00C24EF2
.long 0xD3B1403E, 0x18027D26
.long 0xD3B24004, 0x18027118
.long 0xD3B24006, 0x1802751A
.long 0xD3B24008, 0x1802791C
.long 0xD3B2400A, 0x18027D1E
.long 0xBEC41E3A
.long 0x7E700304
.long 0x7E720305
.long 0x7E740306
.long 0x7E760307
.long 0x7E780308
.long 0x7E7A0309
.long 0x7E7C030A
.long 0x7E7E030B
.long 0x8E468224
	;; [unrolled: 34-line block ×3, first 2 shown]
.long 0x80104610
.long 0x82118011
.long 0xE07C1000, 0x8004400D
.long 0xE07C1010, 0x8004440D
.long 0xBF800000
.long 0x924602FF, 0x00000100
.long 0xD135000F, 0x00008D00
	;; [unrolled: 3-line block ×3, first 2 shown]
.long 0xE05C1000, 0x800F2010
.long 0xE05C1010, 0x800F2410
	;; [unrolled: 1-line block ×34, first 2 shown]
.long 0xBF800001
.long 0x0A50502C
	;; [unrolled: 1-line block ×34, first 2 shown]
.long 0xD0CC0030, 0x0001003E
.long 0xD1000020, 0x00C240F2
	;; [unrolled: 1-line block ×20, first 2 shown]
.long 0xBEC41E3A
.long 0x7E500304
	;; [unrolled: 1-line block ×9, first 2 shown]
.long 0x9246FF24, 0x00000074
.long 0x80104610
.long 0x82118011
.long 0xE07C1000, 0x8004280D
.long 0xE07C1010, 0x80042C0D
.long 0xD0CC0030, 0x0001003E
.long 0xD1000020, 0x00C240F2
.long 0xD1000021, 0x00C242F2
.long 0xD3B14030, 0x18026120
.long 0xD0CC0030, 0x0001003E
.long 0xD1000022, 0x00C244F2
.long 0xD1000023, 0x00C246F2
.long 0xD3B14032, 0x18026522
.long 0xD0CC0030, 0x0001003E
.long 0xD1000024, 0x00C248F2
.long 0xD1000025, 0x00C24AF2
.long 0xD3B14034, 0x18026924
.long 0xD0CC0030, 0x0001003E
.long 0xD1000026, 0x00C24CF2
.long 0xD1000027, 0x00C24EF2
.long 0xD3B14036, 0x18026D26
.long 0xD3B24004, 0x18026118
.long 0xD3B24006, 0x1802651A
.long 0xD3B24008, 0x1802691C
.long 0xD3B2400A, 0x18026D1E
.long 0xBEC41E3A
.long 0x7E600304
.long 0x7E620305
.long 0x7E640306
.long 0x7E660307
.long 0x7E680308
.long 0x7E6A0309
.long 0x7E6C030A
.long 0x7E6E030B
.long 0x8E468224
.long 0x80104610
.long 0x82118011
.long 0xE07C1000, 0x8004300D
.long 0xE07C1010, 0x8004340D
.long 0xD0CC0030, 0x0001003E
.long 0xD1000020, 0x00C240F2
.long 0xD1000021, 0x00C242F2
.long 0xD3B14038, 0x18027120
.long 0xD0CC0030, 0x0001003E
.long 0xD1000022, 0x00C244F2
.long 0xD1000023, 0x00C246F2
.long 0xD3B1403A, 0x18027522
.long 0xD0CC0030, 0x0001003E
.long 0xD1000024, 0x00C248F2
.long 0xD1000025, 0x00C24AF2
.long 0xD3B1403C, 0x18027924
.long 0xD0CC0030, 0x0001003E
.long 0xD1000026, 0x00C24CF2
.long 0xD1000027, 0x00C24EF2
.long 0xD3B1403E, 0x18027D26
.long 0xD3B24004, 0x18027118
.long 0xD3B24006, 0x1802751A
.long 0xD3B24008, 0x1802791C
.long 0xD3B2400A, 0x18027D1E
.long 0xBEC41E3A
.long 0x7E700304
.long 0x7E720305
.long 0x7E740306
.long 0x7E760307
.long 0x7E780308
.long 0x7E7A0309
.long 0x7E7C030A
.long 0x7E7E030B
.long 0x8E468224
	;; [unrolled: 34-line block ×3, first 2 shown]
.long 0x80104610
.long 0x82118011
.long 0xE07C1000, 0x8004400D
.long 0xE07C1010, 0x8004440D
.long 0xBF800000
.long 0x924602FF, 0x00000100
.long 0xD135000F, 0x00008D00
	;; [unrolled: 3-line block ×3, first 2 shown]
.long 0xE05C1000, 0x800F2010
.long 0xE05C1010, 0x800F2410
	;; [unrolled: 1-line block ×34, first 2 shown]
.long 0xBF800001
.long 0x0A50502C
	;; [unrolled: 1-line block ×34, first 2 shown]
.long 0xD0CC0030, 0x0001003E
.long 0xD1000020, 0x00C240F2
	;; [unrolled: 1-line block ×20, first 2 shown]
.long 0xBEC41E3A
.long 0x7E500304
	;; [unrolled: 1-line block ×9, first 2 shown]
.long 0x9246FF24, 0x00000074
.long 0x80104610
.long 0x82118011
.long 0xE07C1000, 0x8004280D
.long 0xE07C1010, 0x80042C0D
.long 0xD0CC0030, 0x0001003E
.long 0xD1000020, 0x00C240F2
.long 0xD1000021, 0x00C242F2
.long 0xD3B14030, 0x18026120
.long 0xD0CC0030, 0x0001003E
.long 0xD1000022, 0x00C244F2
.long 0xD1000023, 0x00C246F2
.long 0xD3B14032, 0x18026522
.long 0xD0CC0030, 0x0001003E
.long 0xD1000024, 0x00C248F2
.long 0xD1000025, 0x00C24AF2
.long 0xD3B14034, 0x18026924
.long 0xD0CC0030, 0x0001003E
.long 0xD1000026, 0x00C24CF2
.long 0xD1000027, 0x00C24EF2
.long 0xD3B14036, 0x18026D26
.long 0xD3B24004, 0x18026118
.long 0xD3B24006, 0x1802651A
.long 0xD3B24008, 0x1802691C
.long 0xD3B2400A, 0x18026D1E
.long 0xBEC41E3A
.long 0x7E600304
.long 0x7E620305
.long 0x7E640306
.long 0x7E660307
.long 0x7E680308
.long 0x7E6A0309
.long 0x7E6C030A
.long 0x7E6E030B
.long 0x8E468224
.long 0x80104610
.long 0x82118011
.long 0xE07C1000, 0x8004300D
.long 0xE07C1010, 0x8004340D
.long 0xD0CC0030, 0x0001003E
.long 0xD1000020, 0x00C240F2
.long 0xD1000021, 0x00C242F2
.long 0xD3B14038, 0x18027120
.long 0xD0CC0030, 0x0001003E
.long 0xD1000022, 0x00C244F2
.long 0xD1000023, 0x00C246F2
.long 0xD3B1403A, 0x18027522
.long 0xD0CC0030, 0x0001003E
.long 0xD1000024, 0x00C248F2
.long 0xD1000025, 0x00C24AF2
.long 0xD3B1403C, 0x18027924
.long 0xD0CC0030, 0x0001003E
.long 0xD1000026, 0x00C24CF2
.long 0xD1000027, 0x00C24EF2
.long 0xD3B1403E, 0x18027D26
.long 0xD3B24004, 0x18027118
.long 0xD3B24006, 0x1802751A
.long 0xD3B24008, 0x1802791C
.long 0xD3B2400A, 0x18027D1E
.long 0xBEC41E3A
.long 0x7E700304
.long 0x7E720305
.long 0x7E740306
.long 0x7E760307
.long 0x7E780308
.long 0x7E7A0309
.long 0x7E7C030A
.long 0x7E7E030B
.long 0x8E468224
.long 0x80104610
.long 0x82118011
.long 0xE07C1000, 0x8004380D
.long 0xE07C1010, 0x80043C0D
.long 0xD0CC0030, 0x0001003E
.long 0xD1000020, 0x00C240F2
.long 0xD1000021, 0x00C242F2
.long 0xD3B14040, 0x18028120
.long 0xD0CC0030, 0x0001003E
.long 0xD1000022, 0x00C244F2
.long 0xD1000023, 0x00C246F2
.long 0xD3B14042, 0x18028522
.long 0xD0CC0030, 0x0001003E
.long 0xD1000024, 0x00C248F2
.long 0xD1000025, 0x00C24AF2
.long 0xD3B14044, 0x18028924
.long 0xD0CC0030, 0x0001003E
.long 0xD1000026, 0x00C24CF2
.long 0xD1000027, 0x00C24EF2
.long 0xD3B14046, 0x18028D26
.long 0xD3B24004, 0x18028118
.long 0xD3B24006, 0x1802851A
.long 0xD3B24008, 0x1802891C
.long 0xD3B2400A, 0x18028D1E
.long 0xBEC41E3A
.long 0x7E800304
.long 0x7E820305
.long 0x7E840306
.long 0x7E860307
.long 0x7E880308
.long 0x7E8A0309
.long 0x7E8C030A
.long 0x7E8E030B
.long 0x8E468224
.long 0x80104610
.long 0x82118011
.long 0xE07C1000, 0x8004400D
.long 0xE07C1010, 0x8004440D
.long 0xBF800000
.long 0x924602FF, 0x00000100
.long 0xD135000F, 0x00008D00
.long 0x241E1E82
.long 0xD9FE0000, 0x1800000F
.long 0xD9FE0010, 0x1C00000F
.long 0xE05C1000, 0x800F2010
.long 0xE05C1010, 0x800F2410
	;; [unrolled: 1-line block ×34, first 2 shown]
.long 0xBF800001
.long 0x0A50502C
	;; [unrolled: 1-line block ×34, first 2 shown]
.long 0xD0CC0030, 0x0001003E
.long 0xD1000020, 0x00C240F2
	;; [unrolled: 1-line block ×20, first 2 shown]
.long 0xBEC41E3A
.long 0x7E500304
	;; [unrolled: 1-line block ×9, first 2 shown]
.long 0x9246FF24, 0x00000074
.long 0x80104610
.long 0x82118011
.long 0xE07C1000, 0x8004280D
.long 0xE07C1010, 0x80042C0D
.long 0xD0CC0030, 0x0001003E
.long 0xD1000020, 0x00C240F2
.long 0xD1000021, 0x00C242F2
.long 0xD3B14030, 0x18026120
.long 0xD0CC0030, 0x0001003E
.long 0xD1000022, 0x00C244F2
.long 0xD1000023, 0x00C246F2
.long 0xD3B14032, 0x18026522
.long 0xD0CC0030, 0x0001003E
.long 0xD1000024, 0x00C248F2
.long 0xD1000025, 0x00C24AF2
.long 0xD3B14034, 0x18026924
.long 0xD0CC0030, 0x0001003E
.long 0xD1000026, 0x00C24CF2
.long 0xD1000027, 0x00C24EF2
.long 0xD3B14036, 0x18026D26
.long 0xD3B24004, 0x18026118
.long 0xD3B24006, 0x1802651A
.long 0xD3B24008, 0x1802691C
.long 0xD3B2400A, 0x18026D1E
.long 0xBEC41E3A
.long 0x7E600304
.long 0x7E620305
.long 0x7E640306
.long 0x7E660307
.long 0x7E680308
.long 0x7E6A0309
.long 0x7E6C030A
.long 0x7E6E030B
.long 0x8E468224
.long 0x80104610
.long 0x82118011
.long 0xE07C1000, 0x8004300D
.long 0xE07C1010, 0x8004340D
.long 0xD0CC0030, 0x0001003E
.long 0xD1000020, 0x00C240F2
.long 0xD1000021, 0x00C242F2
.long 0xD3B14038, 0x18027120
.long 0xD0CC0030, 0x0001003E
.long 0xD1000022, 0x00C244F2
.long 0xD1000023, 0x00C246F2
.long 0xD3B1403A, 0x18027522
.long 0xD0CC0030, 0x0001003E
.long 0xD1000024, 0x00C248F2
.long 0xD1000025, 0x00C24AF2
.long 0xD3B1403C, 0x18027924
.long 0xD0CC0030, 0x0001003E
.long 0xD1000026, 0x00C24CF2
.long 0xD1000027, 0x00C24EF2
.long 0xD3B1403E, 0x18027D26
.long 0xD3B24004, 0x18027118
.long 0xD3B24006, 0x1802751A
.long 0xD3B24008, 0x1802791C
.long 0xD3B2400A, 0x18027D1E
.long 0xBEC41E3A
.long 0x7E700304
.long 0x7E720305
.long 0x7E740306
.long 0x7E760307
.long 0x7E780308
.long 0x7E7A0309
.long 0x7E7C030A
.long 0x7E7E030B
.long 0x8E468224
	;; [unrolled: 34-line block ×3, first 2 shown]
.long 0x80104610
.long 0x82118011
.long 0xE07C1000, 0x8004400D
.long 0xE07C1010, 0x8004440D
.long 0xBF800000
.long 0x924602FF, 0x00000100
.long 0xD135000F, 0x00008D00
	;; [unrolled: 3-line block ×3, first 2 shown]
.long 0xE05C1000, 0x800F2010
.long 0xE05C1010, 0x800F2410
.long 0x7E5003A0
.long 0x7E5203A4
	;; [unrolled: 1-line block ×66, first 2 shown]
.long 0xD0CC0030, 0x0001003E
.long 0xD1000020, 0x00C240F2
	;; [unrolled: 1-line block ×20, first 2 shown]
.long 0xBEC41E3A
.long 0x7E500304
	;; [unrolled: 1-line block ×9, first 2 shown]
.long 0x9246FF24, 0x00000074
.long 0x80104610
.long 0x82118011
.long 0xE07C1000, 0x8004280D
.long 0xE07C1010, 0x80042C0D
.long 0xD0CC0030, 0x0001003E
.long 0xD1000020, 0x00C240F2
.long 0xD1000021, 0x00C242F2
.long 0xD3B14030, 0x18026120
.long 0xD0CC0030, 0x0001003E
.long 0xD1000022, 0x00C244F2
.long 0xD1000023, 0x00C246F2
.long 0xD3B14032, 0x18026522
.long 0xD0CC0030, 0x0001003E
.long 0xD1000024, 0x00C248F2
.long 0xD1000025, 0x00C24AF2
.long 0xD3B14034, 0x18026924
.long 0xD0CC0030, 0x0001003E
.long 0xD1000026, 0x00C24CF2
.long 0xD1000027, 0x00C24EF2
.long 0xD3B14036, 0x18026D26
.long 0xD3B24004, 0x18026118
.long 0xD3B24006, 0x1802651A
.long 0xD3B24008, 0x1802691C
.long 0xD3B2400A, 0x18026D1E
.long 0xBEC41E3A
.long 0x7E600304
.long 0x7E620305
.long 0x7E640306
.long 0x7E660307
.long 0x7E680308
.long 0x7E6A0309
.long 0x7E6C030A
.long 0x7E6E030B
.long 0x8E468224
.long 0x80104610
.long 0x82118011
.long 0xE07C1000, 0x8004300D
.long 0xE07C1010, 0x8004340D
.long 0xD0CC0030, 0x0001003E
.long 0xD1000020, 0x00C240F2
.long 0xD1000021, 0x00C242F2
.long 0xD3B14038, 0x18027120
.long 0xD0CC0030, 0x0001003E
.long 0xD1000022, 0x00C244F2
.long 0xD1000023, 0x00C246F2
.long 0xD3B1403A, 0x18027522
.long 0xD0CC0030, 0x0001003E
.long 0xD1000024, 0x00C248F2
.long 0xD1000025, 0x00C24AF2
.long 0xD3B1403C, 0x18027924
.long 0xD0CC0030, 0x0001003E
.long 0xD1000026, 0x00C24CF2
.long 0xD1000027, 0x00C24EF2
.long 0xD3B1403E, 0x18027D26
.long 0xD3B24004, 0x18027118
.long 0xD3B24006, 0x1802751A
.long 0xD3B24008, 0x1802791C
.long 0xD3B2400A, 0x18027D1E
.long 0xBEC41E3A
.long 0x7E700304
.long 0x7E720305
.long 0x7E740306
.long 0x7E760307
.long 0x7E780308
.long 0x7E7A0309
.long 0x7E7C030A
.long 0x7E7E030B
.long 0x8E468224
	;; [unrolled: 34-line block ×3, first 2 shown]
.long 0x80104610
.long 0x82118011
.long 0xE07C1000, 0x8004400D
.long 0xE07C1010, 0x8004440D
.long 0xBF800000
.long 0x924602FF, 0x00000100
.long 0xD135000F, 0x00008D00
	;; [unrolled: 3-line block ×3, first 2 shown]
.long 0xE05C1000, 0x800F2010
.long 0xE05C1010, 0x800F2410
.long 0x7E5003C0
.long 0x7E5203C4
	;; [unrolled: 1-line block ×66, first 2 shown]
.long 0xD0CC0030, 0x0001003E
.long 0xD1000020, 0x00C240F2
	;; [unrolled: 1-line block ×20, first 2 shown]
.long 0xBEC41E3A
.long 0x7E500304
	;; [unrolled: 1-line block ×9, first 2 shown]
.long 0x9246FF24, 0x00000074
.long 0x80104610
.long 0x82118011
.long 0xE07C1000, 0x8004280D
.long 0xE07C1010, 0x80042C0D
.long 0xD0CC0030, 0x0001003E
.long 0xD1000020, 0x00C240F2
.long 0xD1000021, 0x00C242F2
.long 0xD3B14030, 0x18026120
.long 0xD0CC0030, 0x0001003E
.long 0xD1000022, 0x00C244F2
.long 0xD1000023, 0x00C246F2
.long 0xD3B14032, 0x18026522
.long 0xD0CC0030, 0x0001003E
.long 0xD1000024, 0x00C248F2
.long 0xD1000025, 0x00C24AF2
.long 0xD3B14034, 0x18026924
.long 0xD0CC0030, 0x0001003E
.long 0xD1000026, 0x00C24CF2
.long 0xD1000027, 0x00C24EF2
.long 0xD3B14036, 0x18026D26
.long 0xD3B24004, 0x18026118
.long 0xD3B24006, 0x1802651A
.long 0xD3B24008, 0x1802691C
.long 0xD3B2400A, 0x18026D1E
.long 0xBEC41E3A
.long 0x7E600304
.long 0x7E620305
.long 0x7E640306
.long 0x7E660307
.long 0x7E680308
.long 0x7E6A0309
.long 0x7E6C030A
.long 0x7E6E030B
.long 0x8E468224
.long 0x80104610
.long 0x82118011
.long 0xE07C1000, 0x8004300D
.long 0xE07C1010, 0x8004340D
.long 0xD0CC0030, 0x0001003E
.long 0xD1000020, 0x00C240F2
.long 0xD1000021, 0x00C242F2
.long 0xD3B14038, 0x18027120
.long 0xD0CC0030, 0x0001003E
.long 0xD1000022, 0x00C244F2
.long 0xD1000023, 0x00C246F2
.long 0xD3B1403A, 0x18027522
.long 0xD0CC0030, 0x0001003E
.long 0xD1000024, 0x00C248F2
.long 0xD1000025, 0x00C24AF2
.long 0xD3B1403C, 0x18027924
.long 0xD0CC0030, 0x0001003E
.long 0xD1000026, 0x00C24CF2
.long 0xD1000027, 0x00C24EF2
.long 0xD3B1403E, 0x18027D26
.long 0xD3B24004, 0x18027118
.long 0xD3B24006, 0x1802751A
.long 0xD3B24008, 0x1802791C
.long 0xD3B2400A, 0x18027D1E
.long 0xBEC41E3A
.long 0x7E700304
.long 0x7E720305
.long 0x7E740306
.long 0x7E760307
.long 0x7E780308
.long 0x7E7A0309
.long 0x7E7C030A
.long 0x7E7E030B
.long 0x8E468224
	;; [unrolled: 34-line block ×3, first 2 shown]
.long 0x80104610
.long 0x82118011
.long 0xE07C1000, 0x8004400D
.long 0xE07C1010, 0x8004440D
.long 0xBF800000
.long 0x924602FF, 0x00000100
.long 0xD135000F, 0x00008D00
.long 0x241E1E82
.long 0xD9FE0000, 0x1800000F
.long 0xD9FE0010, 0x1C00000F
.long 0xE05C1000, 0x800F2010
.long 0xE05C1010, 0x800F2410
.long 0x7E5003E0
.long 0x7E5203E4
	;; [unrolled: 1-line block ×66, first 2 shown]
.long 0xD0CC0030, 0x0001003E
.long 0xD1000020, 0x00C240F2
	;; [unrolled: 1-line block ×20, first 2 shown]
.long 0xBEC41E3A
.long 0x7E500304
	;; [unrolled: 1-line block ×9, first 2 shown]
.long 0x9246FF24, 0x00000074
.long 0x80104610
.long 0x82118011
.long 0xE07C1000, 0x8004280D
.long 0xE07C1010, 0x80042C0D
.long 0xD0CC0030, 0x0001003E
.long 0xD1000020, 0x00C240F2
.long 0xD1000021, 0x00C242F2
.long 0xD3B14030, 0x18026120
.long 0xD0CC0030, 0x0001003E
.long 0xD1000022, 0x00C244F2
.long 0xD1000023, 0x00C246F2
.long 0xD3B14032, 0x18026522
.long 0xD0CC0030, 0x0001003E
.long 0xD1000024, 0x00C248F2
.long 0xD1000025, 0x00C24AF2
.long 0xD3B14034, 0x18026924
.long 0xD0CC0030, 0x0001003E
.long 0xD1000026, 0x00C24CF2
.long 0xD1000027, 0x00C24EF2
.long 0xD3B14036, 0x18026D26
.long 0xD3B24004, 0x18026118
.long 0xD3B24006, 0x1802651A
.long 0xD3B24008, 0x1802691C
.long 0xD3B2400A, 0x18026D1E
.long 0xBEC41E3A
.long 0x7E600304
.long 0x7E620305
.long 0x7E640306
.long 0x7E660307
.long 0x7E680308
.long 0x7E6A0309
.long 0x7E6C030A
.long 0x7E6E030B
.long 0x8E468224
.long 0x80104610
.long 0x82118011
.long 0xE07C1000, 0x8004300D
.long 0xE07C1010, 0x8004340D
.long 0xD0CC0030, 0x0001003E
.long 0xD1000020, 0x00C240F2
.long 0xD1000021, 0x00C242F2
.long 0xD3B14038, 0x18027120
.long 0xD0CC0030, 0x0001003E
.long 0xD1000022, 0x00C244F2
.long 0xD1000023, 0x00C246F2
.long 0xD3B1403A, 0x18027522
.long 0xD0CC0030, 0x0001003E
.long 0xD1000024, 0x00C248F2
.long 0xD1000025, 0x00C24AF2
.long 0xD3B1403C, 0x18027924
.long 0xD0CC0030, 0x0001003E
.long 0xD1000026, 0x00C24CF2
.long 0xD1000027, 0x00C24EF2
.long 0xD3B1403E, 0x18027D26
.long 0xD3B24004, 0x18027118
.long 0xD3B24006, 0x1802751A
.long 0xD3B24008, 0x1802791C
.long 0xD3B2400A, 0x18027D1E
.long 0xBEC41E3A
.long 0x7E700304
.long 0x7E720305
.long 0x7E740306
.long 0x7E760307
.long 0x7E780308
.long 0x7E7A0309
.long 0x7E7C030A
.long 0x7E7E030B
.long 0x8E468224
.long 0x80104610
.long 0x82118011
.long 0xE07C1000, 0x8004380D
.long 0xE07C1010, 0x80043C0D
.long 0xD0CC0030, 0x0001003E
.long 0xD1000020, 0x00C240F2
.long 0xD1000021, 0x00C242F2
.long 0xD3B14040, 0x18028120
.long 0xD0CC0030, 0x0001003E
.long 0xD1000022, 0x00C244F2
.long 0xD1000023, 0x00C246F2
.long 0xD3B14042, 0x18028522
.long 0xD0CC0030, 0x0001003E
.long 0xD1000024, 0x00C248F2
.long 0xD1000025, 0x00C24AF2
.long 0xD3B14044, 0x18028924
.long 0xD0CC0030, 0x0001003E
.long 0xD1000026, 0x00C24CF2
.long 0xD1000027, 0x00C24EF2
.long 0xD3B14046, 0x18028D26
.long 0xD3B24004, 0x18028118
.long 0xD3B24006, 0x1802851A
.long 0xD3B24008, 0x1802891C
.long 0xD3B2400A, 0x18028D1E
.long 0xBEC41E3A
.long 0x7E800304
.long 0x7E820305
.long 0x7E840306
.long 0x7E860307
.long 0x7E880308
.long 0x7E8A0309
.long 0x7E8C030A
.long 0x7E8E030B
.long 0x8E468224
.long 0x80104610
.long 0x82118011
.long 0xE07C1000, 0x8004400D
.long 0xE07C1010, 0x8004440D
.long 0xBF800000
.long 0xBF823A88
.long 0x7E8202FF, 0x80000000
.long 0xD0C90046, 0x00003100
	;; [unrolled: 1-line block ×3, first 2 shown]
.long 0x86CA4A46
.long 0x924602FF, 0x00000100
.long 0xD135000E, 0x00008D00
.long 0x241C1C82
.long 0xD100000E, 0x012A1D41
.long 0xBF8CC07F
.long 0xBF8A0000
.long 0xD9FE0000, 0x1000000E
.long 0xD9FE0010, 0x1400000E
.long 0x241E0082
.long 0xE05C1000, 0x800F180F
.long 0xE05C1010, 0x800F1C0F
	;; [unrolled: 1-line block ×9, first 2 shown]
.long 0x86CA4A46
.long 0x924602FF, 0x00000100
.long 0xD1350029, 0x00008D00
.long 0x24525282
.long 0xD1000029, 0x012A5341
.long 0x24540082
.long 0xD1FE0028, 0x020A0103
.long 0xD1000028, 0x012A5141
.long 0xD1196A01, 0x00010301
.long 0xD1340002, 0x00004D02
.long 0xD1340003, 0x00004903
.long 0xD0C90046, 0x00003100
.long 0xD0C9004A, 0x00003301
.long 0x86CA4A46
.long 0x924602FF, 0x00000100
.long 0xD135002C, 0x00008D00
.long 0x24585882
.long 0xD100002C, 0x012A5941
.long 0x245A0082
.long 0xD1FE002B, 0x020A0103
.long 0xD100002B, 0x012A5741
.long 0xD1196A01, 0x00010301
.long 0xD1340002, 0x00004D02
.long 0xD1340003, 0x00004903
.long 0xD0C90046, 0x00003100
.long 0xD0C9004A, 0x00003301
	;; [unrolled: 13-line block ×3, first 2 shown]
.long 0xD3D84025, 0x18000114
.long 0xD3D84026, 0x18000118
	;; [unrolled: 1-line block ×27, first 2 shown]
.long 0xBF800001
.long 0x0A40402C
	;; [unrolled: 1-line block ×34, first 2 shown]
.long 0xD0CC0030, 0x0001003E
.long 0xD1000018, 0x00C230F2
.long 0xD1000019, 0x00C232F2
.long 0xD3B14020, 0x18024118
.long 0xD0CC0030, 0x0001003E
.long 0xD100001A, 0x00C234F2
.long 0xD100001B, 0x00C236F2
.long 0xD3B14022, 0x1802451A
.long 0xD0CC0030, 0x0001003E
.long 0xD100001C, 0x00C238F2
.long 0xD100001D, 0x00C23AF2
.long 0xD3B14024, 0x1802491C
.long 0xD0CC0030, 0x0001003E
.long 0xD100001E, 0x00C23CF2
.long 0xD100001F, 0x00C23EF2
.long 0xD3B14026, 0x18024D1E
.long 0xD3B24004, 0x18024110
.long 0xD3B24006, 0x18024512
.long 0xD3B24008, 0x18024914
.long 0xD3B2400A, 0x18024D16
.long 0xBEC41E3A
.long 0x7E400304
.long 0x7E420305
.long 0x7E440306
.long 0x7E460307
.long 0x7E480308
.long 0x7E4A0309
.long 0x7E4C030A
.long 0x7E4E030B
.long 0xE07C1000, 0x8004200D
.long 0xE07C1010, 0x8004240D
.long 0xD0CC0030, 0x0001003E
.long 0xD1000018, 0x00C230F2
.long 0xD1000019, 0x00C232F2
.long 0xD3B14030, 0x18026118
.long 0xD0CC0030, 0x0001003E
.long 0xD100001A, 0x00C234F2
.long 0xD100001B, 0x00C236F2
.long 0xD3B14032, 0x1802651A
.long 0xD0CC0030, 0x0001003E
.long 0xD100001C, 0x00C238F2
.long 0xD100001D, 0x00C23AF2
.long 0xD3B14034, 0x1802691C
.long 0xD0CC0030, 0x0001003E
.long 0xD100001E, 0x00C23CF2
.long 0xD100001F, 0x00C23EF2
.long 0xD3B14036, 0x18026D1E
.long 0xD3B24004, 0x18026110
.long 0xD3B24006, 0x18026512
.long 0xD3B24008, 0x18026914
.long 0xD3B2400A, 0x18026D16
.long 0xBEC41E3A
.long 0x7E600304
.long 0x7E620305
.long 0x7E640306
.long 0x7E660307
.long 0x7E680308
.long 0x7E6A0309
.long 0x7E6C030A
.long 0x7E6E030B
.long 0xE07C1000, 0x80043028
.long 0xE07C1010, 0x80043428
.long 0xD0CC0030, 0x0001003E
.long 0xD1000018, 0x00C230F2
.long 0xD1000019, 0x00C232F2
.long 0xD3B14038, 0x18027118
.long 0xD0CC0030, 0x0001003E
.long 0xD100001A, 0x00C234F2
.long 0xD100001B, 0x00C236F2
.long 0xD3B1403A, 0x1802751A
.long 0xD0CC0030, 0x0001003E
.long 0xD100001C, 0x00C238F2
.long 0xD100001D, 0x00C23AF2
.long 0xD3B1403C, 0x1802791C
.long 0xD0CC0030, 0x0001003E
.long 0xD100001E, 0x00C23CF2
.long 0xD100001F, 0x00C23EF2
.long 0xD3B1403E, 0x18027D1E
.long 0xD3B24004, 0x18027110
.long 0xD3B24006, 0x18027512
.long 0xD3B24008, 0x18027914
.long 0xD3B2400A, 0x18027D16
.long 0xBEC41E3A
.long 0x7E700304
.long 0x7E720305
.long 0x7E740306
.long 0x7E760307
.long 0x7E780308
.long 0x7E7A0309
.long 0x7E7C030A
.long 0x7E7E030B
.long 0xE07C1000, 0x8004382B
.long 0xE07C1010, 0x80043C2B
.long 0xD0CC0030, 0x0001003E
.long 0xD1000018, 0x00C230F2
.long 0xD1000019, 0x00C232F2
.long 0xD3B14048, 0x18029118
.long 0xD0CC0030, 0x0001003E
.long 0xD100001A, 0x00C234F2
.long 0xD100001B, 0x00C236F2
.long 0xD3B1404A, 0x1802951A
.long 0xD0CC0030, 0x0001003E
.long 0xD100001C, 0x00C238F2
.long 0xD100001D, 0x00C23AF2
.long 0xD3B1404C, 0x1802991C
.long 0xD0CC0030, 0x0001003E
.long 0xD100001E, 0x00C23CF2
.long 0xD100001F, 0x00C23EF2
.long 0xD3B1404E, 0x18029D1E
.long 0xD3B24004, 0x18029110
.long 0xD3B24006, 0x18029512
.long 0xD3B24008, 0x18029914
.long 0xD3B2400A, 0x18029D16
.long 0xBEC41E3A
.long 0x7E900304
.long 0x7E920305
.long 0x7E940306
.long 0x7E960307
.long 0x7E980308
.long 0x7E9A0309
.long 0x7E9C030A
.long 0x7E9E030B
.long 0xE07C1000, 0x8004482E
.long 0xE07C1010, 0x80044C2E
.long 0xBF800000
.long 0x7E8202FF, 0x80000000
.long 0xD1196A01, 0x00013B01
.long 0x92469D26
.long 0xD1340002, 0x00008D02
.long 0x92469D24
.long 0xD1340003, 0x00008D03
.long 0xD0C90046, 0x00003100
	;; [unrolled: 1-line block ×3, first 2 shown]
.long 0x86CA4A46
.long 0x924602FF, 0x00000100
.long 0xD135000E, 0x00008D00
.long 0x241C1C82
.long 0xD100000E, 0x012A1D41
.long 0xD9FE0000, 0x1000000E
	;; [unrolled: 1-line block ×3, first 2 shown]
.long 0x241E0082
.long 0xE05C1000, 0x800F180F
.long 0xE05C1010, 0x800F1C0F
	;; [unrolled: 1-line block ×9, first 2 shown]
.long 0x86CA4A46
.long 0x924602FF, 0x00000100
.long 0xD1350029, 0x00008D00
.long 0x24525282
.long 0xD1000029, 0x012A5341
.long 0x24540082
.long 0xD1FE0028, 0x020A0103
.long 0xD1000028, 0x012A5141
.long 0xD1196A01, 0x00010301
.long 0xD1340002, 0x00004D02
.long 0xD1340003, 0x00004903
.long 0xD0C90046, 0x00003100
.long 0xD0C9004A, 0x00003301
.long 0x86CA4A46
.long 0x924602FF, 0x00000100
.long 0xD135002C, 0x00008D00
.long 0x24585882
.long 0xD100002C, 0x012A5941
.long 0x245A0082
.long 0xD1FE002B, 0x020A0103
.long 0xD100002B, 0x012A5741
.long 0xD1196A01, 0x00010301
.long 0xD1340002, 0x00004D02
.long 0xD1340003, 0x00004903
.long 0xD0C90046, 0x00003100
.long 0xD0C9004A, 0x00003301
	;; [unrolled: 13-line block ×3, first 2 shown]
.long 0xD3D84025, 0x18000134
.long 0xD3D84026, 0x18000138
	;; [unrolled: 1-line block ×27, first 2 shown]
.long 0xBF800001
.long 0x0A40402C
	;; [unrolled: 1-line block ×34, first 2 shown]
.long 0xD0CC0030, 0x0001003E
.long 0xD1000018, 0x00C230F2
.long 0xD1000019, 0x00C232F2
.long 0xD3B14020, 0x18024118
.long 0xD0CC0030, 0x0001003E
.long 0xD100001A, 0x00C234F2
.long 0xD100001B, 0x00C236F2
.long 0xD3B14022, 0x1802451A
.long 0xD0CC0030, 0x0001003E
.long 0xD100001C, 0x00C238F2
.long 0xD100001D, 0x00C23AF2
.long 0xD3B14024, 0x1802491C
.long 0xD0CC0030, 0x0001003E
.long 0xD100001E, 0x00C23CF2
.long 0xD100001F, 0x00C23EF2
.long 0xD3B14026, 0x18024D1E
.long 0xD3B24004, 0x18024110
.long 0xD3B24006, 0x18024512
.long 0xD3B24008, 0x18024914
.long 0xD3B2400A, 0x18024D16
.long 0xBEC41E3A
.long 0x7E400304
.long 0x7E420305
.long 0x7E440306
.long 0x7E460307
.long 0x7E480308
.long 0x7E4A0309
.long 0x7E4C030A
.long 0x7E4E030B
.long 0xE07C1000, 0x8004200D
.long 0xE07C1010, 0x8004240D
.long 0xD0CC0030, 0x0001003E
.long 0xD1000018, 0x00C230F2
.long 0xD1000019, 0x00C232F2
.long 0xD3B14030, 0x18026118
.long 0xD0CC0030, 0x0001003E
.long 0xD100001A, 0x00C234F2
.long 0xD100001B, 0x00C236F2
.long 0xD3B14032, 0x1802651A
.long 0xD0CC0030, 0x0001003E
.long 0xD100001C, 0x00C238F2
.long 0xD100001D, 0x00C23AF2
.long 0xD3B14034, 0x1802691C
.long 0xD0CC0030, 0x0001003E
.long 0xD100001E, 0x00C23CF2
.long 0xD100001F, 0x00C23EF2
.long 0xD3B14036, 0x18026D1E
.long 0xD3B24004, 0x18026110
.long 0xD3B24006, 0x18026512
.long 0xD3B24008, 0x18026914
.long 0xD3B2400A, 0x18026D16
.long 0xBEC41E3A
.long 0x7E600304
.long 0x7E620305
.long 0x7E640306
.long 0x7E660307
.long 0x7E680308
.long 0x7E6A0309
.long 0x7E6C030A
.long 0x7E6E030B
.long 0xE07C1000, 0x80043028
.long 0xE07C1010, 0x80043428
	;; [unrolled: 31-line block ×4, first 2 shown]
.long 0xBF800000
.long 0x7E8202FF, 0x80000000
.long 0xD1196A01, 0x00013B01
.long 0x92469D26
.long 0xD1340002, 0x00008D02
.long 0x92469D24
.long 0xD1340003, 0x00008D03
.long 0xD0C90046, 0x00003100
	;; [unrolled: 1-line block ×3, first 2 shown]
.long 0x86CA4A46
.long 0x924602FF, 0x00000100
.long 0xD135000E, 0x00008D00
.long 0x241C1C82
.long 0xD100000E, 0x012A1D41
.long 0xD9FE0000, 0x1000000E
	;; [unrolled: 1-line block ×3, first 2 shown]
.long 0x241E0082
.long 0xE05C1000, 0x800F180F
.long 0xE05C1010, 0x800F1C0F
	;; [unrolled: 1-line block ×9, first 2 shown]
.long 0x86CA4A46
.long 0x924602FF, 0x00000100
.long 0xD1350029, 0x00008D00
.long 0x24525282
.long 0xD1000029, 0x012A5341
.long 0x24540082
.long 0xD1FE0028, 0x020A0103
.long 0xD1000028, 0x012A5141
.long 0xD1196A01, 0x00010301
.long 0xD1340002, 0x00004D02
.long 0xD1340003, 0x00004903
.long 0xD0C90046, 0x00003100
.long 0xD0C9004A, 0x00003301
.long 0x86CA4A46
.long 0x924602FF, 0x00000100
.long 0xD135002C, 0x00008D00
.long 0x24585882
.long 0xD100002C, 0x012A5941
.long 0x245A0082
.long 0xD1FE002B, 0x020A0103
.long 0xD100002B, 0x012A5741
.long 0xD1196A01, 0x00010301
.long 0xD1340002, 0x00004D02
.long 0xD1340003, 0x00004903
.long 0xD0C90046, 0x00003100
.long 0xD0C9004A, 0x00003301
	;; [unrolled: 13-line block ×3, first 2 shown]
.long 0xD3D84025, 0x18000154
.long 0xD3D84026, 0x18000158
.long 0xD3D84027, 0x1800015C
.long 0xD3D84030, 0x18000141
.long 0xD3D84031, 0x18000145
.long 0xD3D84032, 0x18000149
.long 0xD3D84033, 0x1800014D
.long 0xD3D84034, 0x18000151
.long 0xD3D84035, 0x18000155
.long 0xD3D84036, 0x18000159
.long 0xD3D84037, 0x1800015D
.long 0xD3D84038, 0x18000142
.long 0xD3D84039, 0x18000146
.long 0xD3D8403A, 0x1800014A
.long 0xD3D8403B, 0x1800014E
.long 0xD3D8403C, 0x18000152
.long 0xD3D8403D, 0x18000156
.long 0xD3D8403E, 0x1800015A
.long 0xD3D8403F, 0x1800015E
.long 0xD3D84048, 0x18000143
.long 0xD3D84049, 0x18000147
.long 0xD3D8404A, 0x1800014B
.long 0xD3D8404B, 0x1800014F
.long 0xD3D8404C, 0x18000153
.long 0xD3D8404D, 0x18000157
.long 0xD3D8404E, 0x1800015B
.long 0xD3D8404F, 0x1800015F
.long 0xBF800001
.long 0x0A40402C
	;; [unrolled: 1-line block ×34, first 2 shown]
.long 0xD0CC0030, 0x0001003E
.long 0xD1000018, 0x00C230F2
.long 0xD1000019, 0x00C232F2
.long 0xD3B14020, 0x18024118
.long 0xD0CC0030, 0x0001003E
.long 0xD100001A, 0x00C234F2
.long 0xD100001B, 0x00C236F2
.long 0xD3B14022, 0x1802451A
.long 0xD0CC0030, 0x0001003E
.long 0xD100001C, 0x00C238F2
.long 0xD100001D, 0x00C23AF2
.long 0xD3B14024, 0x1802491C
.long 0xD0CC0030, 0x0001003E
.long 0xD100001E, 0x00C23CF2
.long 0xD100001F, 0x00C23EF2
.long 0xD3B14026, 0x18024D1E
.long 0xD3B24004, 0x18024110
.long 0xD3B24006, 0x18024512
.long 0xD3B24008, 0x18024914
.long 0xD3B2400A, 0x18024D16
.long 0xBEC41E3A
.long 0x7E400304
.long 0x7E420305
.long 0x7E440306
.long 0x7E460307
.long 0x7E480308
.long 0x7E4A0309
.long 0x7E4C030A
.long 0x7E4E030B
.long 0xE07C1000, 0x8004200D
.long 0xE07C1010, 0x8004240D
.long 0xD0CC0030, 0x0001003E
.long 0xD1000018, 0x00C230F2
.long 0xD1000019, 0x00C232F2
.long 0xD3B14030, 0x18026118
.long 0xD0CC0030, 0x0001003E
.long 0xD100001A, 0x00C234F2
.long 0xD100001B, 0x00C236F2
.long 0xD3B14032, 0x1802651A
.long 0xD0CC0030, 0x0001003E
.long 0xD100001C, 0x00C238F2
.long 0xD100001D, 0x00C23AF2
.long 0xD3B14034, 0x1802691C
.long 0xD0CC0030, 0x0001003E
.long 0xD100001E, 0x00C23CF2
.long 0xD100001F, 0x00C23EF2
.long 0xD3B14036, 0x18026D1E
.long 0xD3B24004, 0x18026110
.long 0xD3B24006, 0x18026512
.long 0xD3B24008, 0x18026914
.long 0xD3B2400A, 0x18026D16
.long 0xBEC41E3A
.long 0x7E600304
.long 0x7E620305
.long 0x7E640306
.long 0x7E660307
.long 0x7E680308
.long 0x7E6A0309
.long 0x7E6C030A
.long 0x7E6E030B
.long 0xE07C1000, 0x80043028
.long 0xE07C1010, 0x80043428
	;; [unrolled: 31-line block ×4, first 2 shown]
.long 0xBF800000
.long 0x7E8202FF, 0x80000000
.long 0xD1196A01, 0x00013B01
.long 0x92469D26
.long 0xD1340002, 0x00008D02
.long 0x92469D24
.long 0xD1340003, 0x00008D03
.long 0xD0C90046, 0x00003100
	;; [unrolled: 1-line block ×3, first 2 shown]
.long 0x86CA4A46
.long 0x924602FF, 0x00000100
.long 0xD135000E, 0x00008D00
.long 0x241C1C82
.long 0xD100000E, 0x012A1D41
.long 0xD9FE0000, 0x1000000E
	;; [unrolled: 1-line block ×3, first 2 shown]
.long 0x241E0082
.long 0xE05C1000, 0x800F180F
.long 0xE05C1010, 0x800F1C0F
	;; [unrolled: 1-line block ×9, first 2 shown]
.long 0x86CA4A46
.long 0x924602FF, 0x00000100
.long 0xD1350029, 0x00008D00
.long 0x24525282
.long 0xD1000029, 0x012A5341
.long 0x24540082
.long 0xD1FE0028, 0x020A0103
.long 0xD1000028, 0x012A5141
.long 0xD1196A01, 0x00010301
.long 0xD1340002, 0x00004D02
.long 0xD1340003, 0x00004903
.long 0xD0C90046, 0x00003100
.long 0xD0C9004A, 0x00003301
.long 0x86CA4A46
.long 0x924602FF, 0x00000100
.long 0xD135002C, 0x00008D00
.long 0x24585882
.long 0xD100002C, 0x012A5941
.long 0x245A0082
.long 0xD1FE002B, 0x020A0103
.long 0xD100002B, 0x012A5741
.long 0xD1196A01, 0x00010301
.long 0xD1340002, 0x00004D02
.long 0xD1340003, 0x00004903
.long 0xD0C90046, 0x00003100
.long 0xD0C9004A, 0x00003301
	;; [unrolled: 13-line block ×3, first 2 shown]
.long 0xD3D84025, 0x18000174
.long 0xD3D84026, 0x18000178
	;; [unrolled: 1-line block ×27, first 2 shown]
.long 0xBF800001
.long 0x0A40402C
	;; [unrolled: 1-line block ×34, first 2 shown]
.long 0xD0CC0030, 0x0001003E
.long 0xD1000018, 0x00C230F2
.long 0xD1000019, 0x00C232F2
.long 0xD3B14020, 0x18024118
.long 0xD0CC0030, 0x0001003E
.long 0xD100001A, 0x00C234F2
.long 0xD100001B, 0x00C236F2
.long 0xD3B14022, 0x1802451A
.long 0xD0CC0030, 0x0001003E
.long 0xD100001C, 0x00C238F2
.long 0xD100001D, 0x00C23AF2
.long 0xD3B14024, 0x1802491C
.long 0xD0CC0030, 0x0001003E
.long 0xD100001E, 0x00C23CF2
.long 0xD100001F, 0x00C23EF2
.long 0xD3B14026, 0x18024D1E
.long 0xD3B24004, 0x18024110
.long 0xD3B24006, 0x18024512
.long 0xD3B24008, 0x18024914
.long 0xD3B2400A, 0x18024D16
.long 0xBEC41E3A
.long 0x7E400304
.long 0x7E420305
.long 0x7E440306
.long 0x7E460307
.long 0x7E480308
.long 0x7E4A0309
.long 0x7E4C030A
.long 0x7E4E030B
.long 0xE07C1000, 0x8004200D
.long 0xE07C1010, 0x8004240D
.long 0xD0CC0030, 0x0001003E
.long 0xD1000018, 0x00C230F2
.long 0xD1000019, 0x00C232F2
.long 0xD3B14030, 0x18026118
.long 0xD0CC0030, 0x0001003E
.long 0xD100001A, 0x00C234F2
.long 0xD100001B, 0x00C236F2
.long 0xD3B14032, 0x1802651A
.long 0xD0CC0030, 0x0001003E
.long 0xD100001C, 0x00C238F2
.long 0xD100001D, 0x00C23AF2
.long 0xD3B14034, 0x1802691C
.long 0xD0CC0030, 0x0001003E
.long 0xD100001E, 0x00C23CF2
.long 0xD100001F, 0x00C23EF2
.long 0xD3B14036, 0x18026D1E
.long 0xD3B24004, 0x18026110
.long 0xD3B24006, 0x18026512
.long 0xD3B24008, 0x18026914
.long 0xD3B2400A, 0x18026D16
.long 0xBEC41E3A
.long 0x7E600304
.long 0x7E620305
.long 0x7E640306
.long 0x7E660307
.long 0x7E680308
.long 0x7E6A0309
.long 0x7E6C030A
.long 0x7E6E030B
.long 0xE07C1000, 0x80043028
.long 0xE07C1010, 0x80043428
	;; [unrolled: 31-line block ×4, first 2 shown]
.long 0xBF800000
.long 0x7E8202FF, 0x80000000
.long 0xD1196A01, 0x00013B01
.long 0x92469D26
.long 0xD1340002, 0x00008D02
.long 0x92469D24
.long 0xD1340003, 0x00008D03
.long 0xD0C90046, 0x00003100
	;; [unrolled: 1-line block ×3, first 2 shown]
.long 0x86CA4A46
.long 0x924602FF, 0x00000100
.long 0xD135000E, 0x00008D00
.long 0x241C1C82
.long 0xD100000E, 0x012A1D41
.long 0xD9FE0000, 0x1000000E
	;; [unrolled: 1-line block ×3, first 2 shown]
.long 0x241E0082
.long 0xE05C1000, 0x800F180F
.long 0xE05C1010, 0x800F1C0F
	;; [unrolled: 1-line block ×9, first 2 shown]
.long 0x86CA4A46
.long 0x924602FF, 0x00000100
.long 0xD1350029, 0x00008D00
.long 0x24525282
.long 0xD1000029, 0x012A5341
.long 0x24540082
.long 0xD1FE0028, 0x020A0103
.long 0xD1000028, 0x012A5141
.long 0xD1196A01, 0x00010301
.long 0xD1340002, 0x00004D02
.long 0xD1340003, 0x00004903
.long 0xD0C90046, 0x00003100
.long 0xD0C9004A, 0x00003301
.long 0x86CA4A46
.long 0x924602FF, 0x00000100
.long 0xD135002C, 0x00008D00
.long 0x24585882
.long 0xD100002C, 0x012A5941
.long 0x245A0082
.long 0xD1FE002B, 0x020A0103
.long 0xD100002B, 0x012A5741
.long 0xD1196A01, 0x00010301
.long 0xD1340002, 0x00004D02
.long 0xD1340003, 0x00004903
.long 0xD0C90046, 0x00003100
.long 0xD0C9004A, 0x00003301
	;; [unrolled: 13-line block ×3, first 2 shown]
.long 0xD3D84025, 0x18000194
.long 0xD3D84026, 0x18000198
	;; [unrolled: 1-line block ×27, first 2 shown]
.long 0xBF800001
.long 0x0A40402C
	;; [unrolled: 1-line block ×34, first 2 shown]
.long 0xD0CC0030, 0x0001003E
.long 0xD1000018, 0x00C230F2
.long 0xD1000019, 0x00C232F2
.long 0xD3B14020, 0x18024118
.long 0xD0CC0030, 0x0001003E
.long 0xD100001A, 0x00C234F2
.long 0xD100001B, 0x00C236F2
.long 0xD3B14022, 0x1802451A
.long 0xD0CC0030, 0x0001003E
.long 0xD100001C, 0x00C238F2
.long 0xD100001D, 0x00C23AF2
.long 0xD3B14024, 0x1802491C
.long 0xD0CC0030, 0x0001003E
.long 0xD100001E, 0x00C23CF2
.long 0xD100001F, 0x00C23EF2
.long 0xD3B14026, 0x18024D1E
.long 0xD3B24004, 0x18024110
.long 0xD3B24006, 0x18024512
.long 0xD3B24008, 0x18024914
.long 0xD3B2400A, 0x18024D16
.long 0xBEC41E3A
.long 0x7E400304
.long 0x7E420305
.long 0x7E440306
.long 0x7E460307
.long 0x7E480308
.long 0x7E4A0309
.long 0x7E4C030A
.long 0x7E4E030B
.long 0xE07C1000, 0x8004200D
.long 0xE07C1010, 0x8004240D
.long 0xD0CC0030, 0x0001003E
.long 0xD1000018, 0x00C230F2
.long 0xD1000019, 0x00C232F2
.long 0xD3B14030, 0x18026118
.long 0xD0CC0030, 0x0001003E
.long 0xD100001A, 0x00C234F2
.long 0xD100001B, 0x00C236F2
.long 0xD3B14032, 0x1802651A
.long 0xD0CC0030, 0x0001003E
.long 0xD100001C, 0x00C238F2
.long 0xD100001D, 0x00C23AF2
.long 0xD3B14034, 0x1802691C
.long 0xD0CC0030, 0x0001003E
.long 0xD100001E, 0x00C23CF2
.long 0xD100001F, 0x00C23EF2
.long 0xD3B14036, 0x18026D1E
.long 0xD3B24004, 0x18026110
.long 0xD3B24006, 0x18026512
.long 0xD3B24008, 0x18026914
.long 0xD3B2400A, 0x18026D16
.long 0xBEC41E3A
.long 0x7E600304
.long 0x7E620305
.long 0x7E640306
.long 0x7E660307
.long 0x7E680308
.long 0x7E6A0309
.long 0x7E6C030A
.long 0x7E6E030B
.long 0xE07C1000, 0x80043028
.long 0xE07C1010, 0x80043428
	;; [unrolled: 31-line block ×4, first 2 shown]
.long 0xBF800000
.long 0x7E8202FF, 0x80000000
.long 0xD1196A01, 0x00013B01
.long 0x92469D26
.long 0xD1340002, 0x00008D02
.long 0x92469D24
.long 0xD1340003, 0x00008D03
.long 0xD0C90046, 0x00003100
	;; [unrolled: 1-line block ×3, first 2 shown]
.long 0x86CA4A46
.long 0x924602FF, 0x00000100
.long 0xD135000E, 0x00008D00
.long 0x241C1C82
.long 0xD100000E, 0x012A1D41
.long 0xD9FE0000, 0x1000000E
	;; [unrolled: 1-line block ×3, first 2 shown]
.long 0x241E0082
.long 0xE05C1000, 0x800F180F
.long 0xE05C1010, 0x800F1C0F
	;; [unrolled: 1-line block ×9, first 2 shown]
.long 0x86CA4A46
.long 0x924602FF, 0x00000100
.long 0xD1350029, 0x00008D00
.long 0x24525282
.long 0xD1000029, 0x012A5341
.long 0x24540082
.long 0xD1FE0028, 0x020A0103
.long 0xD1000028, 0x012A5141
.long 0xD1196A01, 0x00010301
.long 0xD1340002, 0x00004D02
.long 0xD1340003, 0x00004903
.long 0xD0C90046, 0x00003100
.long 0xD0C9004A, 0x00003301
.long 0x86CA4A46
.long 0x924602FF, 0x00000100
.long 0xD135002C, 0x00008D00
.long 0x24585882
.long 0xD100002C, 0x012A5941
.long 0x245A0082
.long 0xD1FE002B, 0x020A0103
.long 0xD100002B, 0x012A5741
.long 0xD1196A01, 0x00010301
.long 0xD1340002, 0x00004D02
.long 0xD1340003, 0x00004903
.long 0xD0C90046, 0x00003100
.long 0xD0C9004A, 0x00003301
.long 0x86CA4A46
.long 0x924602FF, 0x00000100
.long 0xD135002F, 0x00008D00
.long 0x245E5E82
.long 0xD100002F, 0x012A5F41
.long 0x24800082
.long 0xD1FE002E, 0x020A0103
.long 0xD100002E, 0x012A5D41
.long 0xD3D84020, 0x180001A0
.long 0xD3D84021, 0x180001A4
.long 0xD3D84022, 0x180001A8
.long 0xD3D84023, 0x180001AC
.long 0xD3D84024, 0x180001B0
.long 0xD3D84025, 0x180001B4
.long 0xD3D84026, 0x180001B8
	;; [unrolled: 1-line block ×27, first 2 shown]
.long 0xBF800001
.long 0x0A40402C
	;; [unrolled: 1-line block ×34, first 2 shown]
.long 0xD0CC0030, 0x0001003E
.long 0xD1000018, 0x00C230F2
.long 0xD1000019, 0x00C232F2
.long 0xD3B14020, 0x18024118
.long 0xD0CC0030, 0x0001003E
.long 0xD100001A, 0x00C234F2
.long 0xD100001B, 0x00C236F2
.long 0xD3B14022, 0x1802451A
.long 0xD0CC0030, 0x0001003E
.long 0xD100001C, 0x00C238F2
.long 0xD100001D, 0x00C23AF2
.long 0xD3B14024, 0x1802491C
.long 0xD0CC0030, 0x0001003E
.long 0xD100001E, 0x00C23CF2
.long 0xD100001F, 0x00C23EF2
.long 0xD3B14026, 0x18024D1E
.long 0xD3B24004, 0x18024110
.long 0xD3B24006, 0x18024512
.long 0xD3B24008, 0x18024914
.long 0xD3B2400A, 0x18024D16
.long 0xBEC41E3A
.long 0x7E400304
.long 0x7E420305
.long 0x7E440306
.long 0x7E460307
.long 0x7E480308
.long 0x7E4A0309
.long 0x7E4C030A
.long 0x7E4E030B
.long 0xE07C1000, 0x8004200D
.long 0xE07C1010, 0x8004240D
.long 0xD0CC0030, 0x0001003E
.long 0xD1000018, 0x00C230F2
.long 0xD1000019, 0x00C232F2
.long 0xD3B14030, 0x18026118
.long 0xD0CC0030, 0x0001003E
.long 0xD100001A, 0x00C234F2
.long 0xD100001B, 0x00C236F2
.long 0xD3B14032, 0x1802651A
.long 0xD0CC0030, 0x0001003E
.long 0xD100001C, 0x00C238F2
.long 0xD100001D, 0x00C23AF2
.long 0xD3B14034, 0x1802691C
.long 0xD0CC0030, 0x0001003E
.long 0xD100001E, 0x00C23CF2
.long 0xD100001F, 0x00C23EF2
.long 0xD3B14036, 0x18026D1E
.long 0xD3B24004, 0x18026110
.long 0xD3B24006, 0x18026512
.long 0xD3B24008, 0x18026914
.long 0xD3B2400A, 0x18026D16
.long 0xBEC41E3A
.long 0x7E600304
.long 0x7E620305
.long 0x7E640306
.long 0x7E660307
.long 0x7E680308
.long 0x7E6A0309
.long 0x7E6C030A
.long 0x7E6E030B
.long 0xE07C1000, 0x80043028
.long 0xE07C1010, 0x80043428
	;; [unrolled: 31-line block ×4, first 2 shown]
.long 0xBF800000
.long 0x7E8202FF, 0x80000000
.long 0xD1196A01, 0x00013B01
.long 0x92469D26
.long 0xD1340002, 0x00008D02
.long 0x92469D24
.long 0xD1340003, 0x00008D03
.long 0xD0C90046, 0x00003100
	;; [unrolled: 1-line block ×3, first 2 shown]
.long 0x86CA4A46
.long 0x924602FF, 0x00000100
.long 0xD135000E, 0x00008D00
.long 0x241C1C82
.long 0xD100000E, 0x012A1D41
.long 0xD9FE0000, 0x1000000E
.long 0xD9FE0010, 0x1400000E
.long 0x241E0082
.long 0xE05C1000, 0x800F180F
.long 0xE05C1010, 0x800F1C0F
	;; [unrolled: 1-line block ×9, first 2 shown]
.long 0x86CA4A46
.long 0x924602FF, 0x00000100
.long 0xD1350029, 0x00008D00
.long 0x24525282
.long 0xD1000029, 0x012A5341
.long 0x24540082
.long 0xD1FE0028, 0x020A0103
.long 0xD1000028, 0x012A5141
.long 0xD1196A01, 0x00010301
.long 0xD1340002, 0x00004D02
.long 0xD1340003, 0x00004903
.long 0xD0C90046, 0x00003100
.long 0xD0C9004A, 0x00003301
.long 0x86CA4A46
.long 0x924602FF, 0x00000100
.long 0xD135002C, 0x00008D00
.long 0x24585882
.long 0xD100002C, 0x012A5941
.long 0x245A0082
.long 0xD1FE002B, 0x020A0103
.long 0xD100002B, 0x012A5741
.long 0xD1196A01, 0x00010301
.long 0xD1340002, 0x00004D02
.long 0xD1340003, 0x00004903
.long 0xD0C90046, 0x00003100
.long 0xD0C9004A, 0x00003301
	;; [unrolled: 13-line block ×3, first 2 shown]
.long 0xD3D84025, 0x180001D4
.long 0xD3D84026, 0x180001D8
	;; [unrolled: 1-line block ×27, first 2 shown]
.long 0xBF800001
.long 0x0A40402C
	;; [unrolled: 1-line block ×34, first 2 shown]
.long 0xD0CC0030, 0x0001003E
.long 0xD1000018, 0x00C230F2
.long 0xD1000019, 0x00C232F2
.long 0xD3B14020, 0x18024118
.long 0xD0CC0030, 0x0001003E
.long 0xD100001A, 0x00C234F2
.long 0xD100001B, 0x00C236F2
.long 0xD3B14022, 0x1802451A
.long 0xD0CC0030, 0x0001003E
.long 0xD100001C, 0x00C238F2
.long 0xD100001D, 0x00C23AF2
.long 0xD3B14024, 0x1802491C
.long 0xD0CC0030, 0x0001003E
.long 0xD100001E, 0x00C23CF2
.long 0xD100001F, 0x00C23EF2
.long 0xD3B14026, 0x18024D1E
.long 0xD3B24004, 0x18024110
.long 0xD3B24006, 0x18024512
.long 0xD3B24008, 0x18024914
.long 0xD3B2400A, 0x18024D16
.long 0xBEC41E3A
.long 0x7E400304
.long 0x7E420305
.long 0x7E440306
.long 0x7E460307
.long 0x7E480308
.long 0x7E4A0309
.long 0x7E4C030A
.long 0x7E4E030B
.long 0xE07C1000, 0x8004200D
.long 0xE07C1010, 0x8004240D
.long 0xD0CC0030, 0x0001003E
.long 0xD1000018, 0x00C230F2
.long 0xD1000019, 0x00C232F2
.long 0xD3B14030, 0x18026118
.long 0xD0CC0030, 0x0001003E
.long 0xD100001A, 0x00C234F2
.long 0xD100001B, 0x00C236F2
.long 0xD3B14032, 0x1802651A
.long 0xD0CC0030, 0x0001003E
.long 0xD100001C, 0x00C238F2
.long 0xD100001D, 0x00C23AF2
.long 0xD3B14034, 0x1802691C
.long 0xD0CC0030, 0x0001003E
.long 0xD100001E, 0x00C23CF2
.long 0xD100001F, 0x00C23EF2
.long 0xD3B14036, 0x18026D1E
.long 0xD3B24004, 0x18026110
.long 0xD3B24006, 0x18026512
.long 0xD3B24008, 0x18026914
.long 0xD3B2400A, 0x18026D16
.long 0xBEC41E3A
.long 0x7E600304
.long 0x7E620305
.long 0x7E640306
.long 0x7E660307
.long 0x7E680308
.long 0x7E6A0309
.long 0x7E6C030A
.long 0x7E6E030B
.long 0xE07C1000, 0x80043028
.long 0xE07C1010, 0x80043428
	;; [unrolled: 31-line block ×4, first 2 shown]
.long 0xBF800000
.long 0x7E8202FF, 0x80000000
.long 0xD1196A01, 0x00013B01
.long 0x92469D26
.long 0xD1340002, 0x00008D02
.long 0x92469D24
.long 0xD1340003, 0x00008D03
.long 0xD0C90046, 0x00003100
	;; [unrolled: 1-line block ×3, first 2 shown]
.long 0x86CA4A46
.long 0x924602FF, 0x00000100
.long 0xD135000E, 0x00008D00
.long 0x241C1C82
.long 0xD100000E, 0x012A1D41
.long 0xD9FE0000, 0x1000000E
	;; [unrolled: 1-line block ×3, first 2 shown]
.long 0x241E0082
.long 0xE05C1000, 0x800F180F
.long 0xE05C1010, 0x800F1C0F
	;; [unrolled: 1-line block ×9, first 2 shown]
.long 0x86CA4A46
.long 0x924602FF, 0x00000100
.long 0xD1350029, 0x00008D00
.long 0x24525282
.long 0xD1000029, 0x012A5341
.long 0x24540082
.long 0xD1FE0028, 0x020A0103
.long 0xD1000028, 0x012A5141
.long 0xD1196A01, 0x00010301
.long 0xD1340002, 0x00004D02
.long 0xD1340003, 0x00004903
.long 0xD0C90046, 0x00003100
.long 0xD0C9004A, 0x00003301
.long 0x86CA4A46
.long 0x924602FF, 0x00000100
.long 0xD135002C, 0x00008D00
.long 0x24585882
.long 0xD100002C, 0x012A5941
.long 0x245A0082
.long 0xD1FE002B, 0x020A0103
.long 0xD100002B, 0x012A5741
.long 0xD1196A01, 0x00010301
.long 0xD1340002, 0x00004D02
.long 0xD1340003, 0x00004903
.long 0xD0C90046, 0x00003100
.long 0xD0C9004A, 0x00003301
	;; [unrolled: 13-line block ×3, first 2 shown]
.long 0xD3D84025, 0x180001F4
.long 0xD3D84026, 0x180001F8
	;; [unrolled: 1-line block ×27, first 2 shown]
.long 0xBF800001
.long 0x0A40402C
	;; [unrolled: 1-line block ×34, first 2 shown]
.long 0xD0CC0030, 0x0001003E
.long 0xD1000018, 0x00C230F2
.long 0xD1000019, 0x00C232F2
.long 0xD3B14020, 0x18024118
.long 0xD0CC0030, 0x0001003E
.long 0xD100001A, 0x00C234F2
.long 0xD100001B, 0x00C236F2
.long 0xD3B14022, 0x1802451A
.long 0xD0CC0030, 0x0001003E
.long 0xD100001C, 0x00C238F2
.long 0xD100001D, 0x00C23AF2
.long 0xD3B14024, 0x1802491C
.long 0xD0CC0030, 0x0001003E
.long 0xD100001E, 0x00C23CF2
.long 0xD100001F, 0x00C23EF2
.long 0xD3B14026, 0x18024D1E
.long 0xD3B24004, 0x18024110
.long 0xD3B24006, 0x18024512
.long 0xD3B24008, 0x18024914
.long 0xD3B2400A, 0x18024D16
.long 0xBEC41E3A
.long 0x7E400304
.long 0x7E420305
.long 0x7E440306
.long 0x7E460307
.long 0x7E480308
.long 0x7E4A0309
.long 0x7E4C030A
.long 0x7E4E030B
.long 0xE07C1000, 0x8004200D
.long 0xE07C1010, 0x8004240D
.long 0xD0CC0030, 0x0001003E
.long 0xD1000018, 0x00C230F2
.long 0xD1000019, 0x00C232F2
.long 0xD3B14030, 0x18026118
.long 0xD0CC0030, 0x0001003E
.long 0xD100001A, 0x00C234F2
.long 0xD100001B, 0x00C236F2
.long 0xD3B14032, 0x1802651A
.long 0xD0CC0030, 0x0001003E
.long 0xD100001C, 0x00C238F2
.long 0xD100001D, 0x00C23AF2
.long 0xD3B14034, 0x1802691C
.long 0xD0CC0030, 0x0001003E
.long 0xD100001E, 0x00C23CF2
.long 0xD100001F, 0x00C23EF2
.long 0xD3B14036, 0x18026D1E
.long 0xD3B24004, 0x18026110
.long 0xD3B24006, 0x18026512
.long 0xD3B24008, 0x18026914
.long 0xD3B2400A, 0x18026D16
.long 0xBEC41E3A
.long 0x7E600304
.long 0x7E620305
.long 0x7E640306
.long 0x7E660307
.long 0x7E680308
.long 0x7E6A0309
.long 0x7E6C030A
.long 0x7E6E030B
.long 0xE07C1000, 0x80043028
.long 0xE07C1010, 0x80043428
	;; [unrolled: 31-line block ×4, first 2 shown]
.long 0xBF800000
.long 0x7E8202FF, 0x80000000
.long 0xD1196A01, 0x00013B01
.long 0x92469D26
.long 0xD1340002, 0x00008D02
.long 0x92469D24
.long 0xD1340003, 0x00008D03
.long 0xD0C90046, 0x00003100
	;; [unrolled: 1-line block ×3, first 2 shown]
.long 0x86CA4A46
.long 0x924602FF, 0x00000100
.long 0xD135000E, 0x00008D00
.long 0x241C1C82
.long 0xD100000E, 0x012A1D41
.long 0xD9FE0000, 0x1000000E
	;; [unrolled: 1-line block ×3, first 2 shown]
.long 0x241E0082
.long 0xE05C1000, 0x800F180F
.long 0xE05C1010, 0x800F1C0F
	;; [unrolled: 1-line block ×9, first 2 shown]
.long 0x86CA4A46
.long 0x924602FF, 0x00000100
.long 0xD1350029, 0x00008D00
.long 0x24525282
.long 0xD1000029, 0x012A5341
.long 0x24540082
.long 0xD1FE0028, 0x020A0103
.long 0xD1000028, 0x012A5141
	;; [unrolled: 1-line block ×7, first 2 shown]
.long 0x86CA4A46
.long 0x924602FF, 0x00000100
.long 0xD135002C, 0x00008D00
.long 0x24585882
.long 0xD100002C, 0x012A5941
.long 0x245A0082
.long 0xD1FE002B, 0x020A0103
.long 0xD100002B, 0x012A5741
	;; [unrolled: 1-line block ×7, first 2 shown]
.long 0x86CA4A46
.long 0x924602FF, 0x00000100
.long 0xD135002F, 0x00008D00
.long 0x245E5E82
.long 0xD100002F, 0x012A5F41
.long 0x24800082
.long 0xD1FE002E, 0x020A0103
.long 0xD100002E, 0x012A5D41
.long 0x7E4003A0
.long 0x7E4203A4
	;; [unrolled: 1-line block ×66, first 2 shown]
.long 0xD0CC0030, 0x0001003E
.long 0xD1000018, 0x00C230F2
.long 0xD1000019, 0x00C232F2
.long 0xD3B14020, 0x18024118
.long 0xD0CC0030, 0x0001003E
.long 0xD100001A, 0x00C234F2
.long 0xD100001B, 0x00C236F2
.long 0xD3B14022, 0x1802451A
.long 0xD0CC0030, 0x0001003E
.long 0xD100001C, 0x00C238F2
.long 0xD100001D, 0x00C23AF2
.long 0xD3B14024, 0x1802491C
.long 0xD0CC0030, 0x0001003E
.long 0xD100001E, 0x00C23CF2
.long 0xD100001F, 0x00C23EF2
.long 0xD3B14026, 0x18024D1E
.long 0xD3B24004, 0x18024110
.long 0xD3B24006, 0x18024512
.long 0xD3B24008, 0x18024914
.long 0xD3B2400A, 0x18024D16
.long 0xBEC41E3A
.long 0x7E400304
.long 0x7E420305
.long 0x7E440306
.long 0x7E460307
.long 0x7E480308
.long 0x7E4A0309
.long 0x7E4C030A
.long 0x7E4E030B
.long 0xE07C1000, 0x8004200D
.long 0xE07C1010, 0x8004240D
.long 0xD0CC0030, 0x0001003E
.long 0xD1000018, 0x00C230F2
.long 0xD1000019, 0x00C232F2
.long 0xD3B14030, 0x18026118
.long 0xD0CC0030, 0x0001003E
.long 0xD100001A, 0x00C234F2
.long 0xD100001B, 0x00C236F2
.long 0xD3B14032, 0x1802651A
.long 0xD0CC0030, 0x0001003E
.long 0xD100001C, 0x00C238F2
.long 0xD100001D, 0x00C23AF2
.long 0xD3B14034, 0x1802691C
.long 0xD0CC0030, 0x0001003E
.long 0xD100001E, 0x00C23CF2
.long 0xD100001F, 0x00C23EF2
.long 0xD3B14036, 0x18026D1E
.long 0xD3B24004, 0x18026110
.long 0xD3B24006, 0x18026512
.long 0xD3B24008, 0x18026914
.long 0xD3B2400A, 0x18026D16
.long 0xBEC41E3A
.long 0x7E600304
.long 0x7E620305
.long 0x7E640306
.long 0x7E660307
.long 0x7E680308
.long 0x7E6A0309
.long 0x7E6C030A
.long 0x7E6E030B
.long 0xE07C1000, 0x80043028
.long 0xE07C1010, 0x80043428
	;; [unrolled: 31-line block ×4, first 2 shown]
.long 0xBF800000
.long 0x7E8202FF, 0x80000000
.long 0xD1196A01, 0x00013B01
.long 0x92469D26
.long 0xD1340002, 0x00008D02
.long 0x92469D24
.long 0xD1340003, 0x00008D03
.long 0xD0C90046, 0x00003100
	;; [unrolled: 1-line block ×3, first 2 shown]
.long 0x86CA4A46
.long 0x924602FF, 0x00000100
.long 0xD135000E, 0x00008D00
.long 0x241C1C82
.long 0xD100000E, 0x012A1D41
.long 0xD9FE0000, 0x1000000E
	;; [unrolled: 1-line block ×3, first 2 shown]
.long 0x241E0082
.long 0xE05C1000, 0x800F180F
.long 0xE05C1010, 0x800F1C0F
	;; [unrolled: 1-line block ×9, first 2 shown]
.long 0x86CA4A46
.long 0x924602FF, 0x00000100
.long 0xD1350029, 0x00008D00
.long 0x24525282
.long 0xD1000029, 0x012A5341
.long 0x24540082
.long 0xD1FE0028, 0x020A0103
.long 0xD1000028, 0x012A5141
	;; [unrolled: 1-line block ×7, first 2 shown]
.long 0x86CA4A46
.long 0x924602FF, 0x00000100
.long 0xD135002C, 0x00008D00
.long 0x24585882
.long 0xD100002C, 0x012A5941
.long 0x245A0082
.long 0xD1FE002B, 0x020A0103
.long 0xD100002B, 0x012A5741
	;; [unrolled: 1-line block ×7, first 2 shown]
.long 0x86CA4A46
.long 0x924602FF, 0x00000100
.long 0xD135002F, 0x00008D00
.long 0x245E5E82
.long 0xD100002F, 0x012A5F41
.long 0x24800082
.long 0xD1FE002E, 0x020A0103
.long 0xD100002E, 0x012A5D41
.long 0x7E4003C0
.long 0x7E4203C4
	;; [unrolled: 1-line block ×66, first 2 shown]
.long 0xD0CC0030, 0x0001003E
.long 0xD1000018, 0x00C230F2
.long 0xD1000019, 0x00C232F2
.long 0xD3B14020, 0x18024118
.long 0xD0CC0030, 0x0001003E
.long 0xD100001A, 0x00C234F2
.long 0xD100001B, 0x00C236F2
.long 0xD3B14022, 0x1802451A
.long 0xD0CC0030, 0x0001003E
.long 0xD100001C, 0x00C238F2
.long 0xD100001D, 0x00C23AF2
.long 0xD3B14024, 0x1802491C
.long 0xD0CC0030, 0x0001003E
.long 0xD100001E, 0x00C23CF2
.long 0xD100001F, 0x00C23EF2
.long 0xD3B14026, 0x18024D1E
.long 0xD3B24004, 0x18024110
.long 0xD3B24006, 0x18024512
.long 0xD3B24008, 0x18024914
.long 0xD3B2400A, 0x18024D16
.long 0xBEC41E3A
.long 0x7E400304
.long 0x7E420305
.long 0x7E440306
.long 0x7E460307
.long 0x7E480308
.long 0x7E4A0309
.long 0x7E4C030A
.long 0x7E4E030B
.long 0xE07C1000, 0x8004200D
.long 0xE07C1010, 0x8004240D
.long 0xD0CC0030, 0x0001003E
.long 0xD1000018, 0x00C230F2
.long 0xD1000019, 0x00C232F2
.long 0xD3B14030, 0x18026118
.long 0xD0CC0030, 0x0001003E
.long 0xD100001A, 0x00C234F2
.long 0xD100001B, 0x00C236F2
.long 0xD3B14032, 0x1802651A
.long 0xD0CC0030, 0x0001003E
.long 0xD100001C, 0x00C238F2
.long 0xD100001D, 0x00C23AF2
.long 0xD3B14034, 0x1802691C
.long 0xD0CC0030, 0x0001003E
.long 0xD100001E, 0x00C23CF2
.long 0xD100001F, 0x00C23EF2
.long 0xD3B14036, 0x18026D1E
.long 0xD3B24004, 0x18026110
.long 0xD3B24006, 0x18026512
.long 0xD3B24008, 0x18026914
.long 0xD3B2400A, 0x18026D16
.long 0xBEC41E3A
.long 0x7E600304
.long 0x7E620305
.long 0x7E640306
.long 0x7E660307
.long 0x7E680308
.long 0x7E6A0309
.long 0x7E6C030A
.long 0x7E6E030B
.long 0xE07C1000, 0x80043028
.long 0xE07C1010, 0x80043428
	;; [unrolled: 31-line block ×4, first 2 shown]
.long 0xBF800000
.long 0x7E8202FF, 0x80000000
.long 0xD1196A01, 0x00013B01
.long 0x92469D26
.long 0xD1340002, 0x00008D02
.long 0x92469D24
.long 0xD1340003, 0x00008D03
.long 0xD0C90046, 0x00003100
	;; [unrolled: 1-line block ×3, first 2 shown]
.long 0x86CA4A46
.long 0x924602FF, 0x00000100
.long 0xD135000E, 0x00008D00
.long 0x241C1C82
.long 0xD100000E, 0x012A1D41
.long 0xD9FE0000, 0x1000000E
.long 0xD9FE0010, 0x1400000E
.long 0x241E0082
.long 0xE05C1000, 0x800F180F
.long 0xE05C1010, 0x800F1C0F
	;; [unrolled: 1-line block ×9, first 2 shown]
.long 0x86CA4A46
.long 0x924602FF, 0x00000100
.long 0xD1350029, 0x00008D00
.long 0x24525282
.long 0xD1000029, 0x012A5341
.long 0x24540082
.long 0xD1FE0028, 0x020A0103
.long 0xD1000028, 0x012A5141
	;; [unrolled: 1-line block ×7, first 2 shown]
.long 0x86CA4A46
.long 0x924602FF, 0x00000100
.long 0xD135002C, 0x00008D00
.long 0x24585882
.long 0xD100002C, 0x012A5941
.long 0x245A0082
.long 0xD1FE002B, 0x020A0103
.long 0xD100002B, 0x012A5741
.long 0xD1196A01, 0x00010301
.long 0xD1340002, 0x00004D02
.long 0xD1340003, 0x00004903
.long 0xD0C90046, 0x00003100
.long 0xD0C9004A, 0x00003301
.long 0x86CA4A46
.long 0x924602FF, 0x00000100
.long 0xD135002F, 0x00008D00
.long 0x245E5E82
.long 0xD100002F, 0x012A5F41
.long 0x24800082
.long 0xD1FE002E, 0x020A0103
.long 0xD100002E, 0x012A5D41
.long 0x7E4003E0
.long 0x7E4203E4
	;; [unrolled: 1-line block ×66, first 2 shown]
.long 0xD0CC0030, 0x0001003E
.long 0xD1000018, 0x00C230F2
.long 0xD1000019, 0x00C232F2
.long 0xD3B14020, 0x18024118
.long 0xD0CC0030, 0x0001003E
.long 0xD100001A, 0x00C234F2
.long 0xD100001B, 0x00C236F2
.long 0xD3B14022, 0x1802451A
.long 0xD0CC0030, 0x0001003E
.long 0xD100001C, 0x00C238F2
.long 0xD100001D, 0x00C23AF2
.long 0xD3B14024, 0x1802491C
.long 0xD0CC0030, 0x0001003E
.long 0xD100001E, 0x00C23CF2
.long 0xD100001F, 0x00C23EF2
.long 0xD3B14026, 0x18024D1E
.long 0xD3B24004, 0x18024110
.long 0xD3B24006, 0x18024512
.long 0xD3B24008, 0x18024914
.long 0xD3B2400A, 0x18024D16
.long 0xBEC41E3A
.long 0x7E400304
.long 0x7E420305
.long 0x7E440306
.long 0x7E460307
.long 0x7E480308
.long 0x7E4A0309
.long 0x7E4C030A
.long 0x7E4E030B
.long 0xE07C1000, 0x8004200D
.long 0xE07C1010, 0x8004240D
.long 0xD0CC0030, 0x0001003E
.long 0xD1000018, 0x00C230F2
.long 0xD1000019, 0x00C232F2
.long 0xD3B14030, 0x18026118
.long 0xD0CC0030, 0x0001003E
.long 0xD100001A, 0x00C234F2
.long 0xD100001B, 0x00C236F2
.long 0xD3B14032, 0x1802651A
.long 0xD0CC0030, 0x0001003E
.long 0xD100001C, 0x00C238F2
.long 0xD100001D, 0x00C23AF2
.long 0xD3B14034, 0x1802691C
.long 0xD0CC0030, 0x0001003E
.long 0xD100001E, 0x00C23CF2
.long 0xD100001F, 0x00C23EF2
.long 0xD3B14036, 0x18026D1E
.long 0xD3B24004, 0x18026110
.long 0xD3B24006, 0x18026512
.long 0xD3B24008, 0x18026914
.long 0xD3B2400A, 0x18026D16
.long 0xBEC41E3A
.long 0x7E600304
.long 0x7E620305
.long 0x7E640306
.long 0x7E660307
.long 0x7E680308
.long 0x7E6A0309
.long 0x7E6C030A
.long 0x7E6E030B
.long 0xE07C1000, 0x80043028
.long 0xE07C1010, 0x80043428
	;; [unrolled: 31-line block ×4, first 2 shown]
.long 0xBF800000
.long 0xBF822918
.long 0x864618FF, 0x000000FF
.long 0x80470DC1
.long 0xBF094702
	;; [unrolled: 1-line block ×6, first 2 shown]
.long 0x924819FF, 0x00000174
.long 0x8EC89048
.long 0x9247FF19, 0x00005D18
.long 0x80484847
.long 0x82498049
	;; [unrolled: 1-line block ×4, first 2 shown]
.long 0x9248FF47, 0x00000160
.long 0x80C64819
.long 0x80470EC1
	;; [unrolled: 1-line block ×6, first 2 shown]
.long 0xD1FE000E, 0x020A0102
.long 0xE05C1000, 0x8005180E
	;; [unrolled: 1-line block ×5, first 2 shown]
.long 0x241E1E82
.long 0xBF8CC07F
.long 0xBF8A0000
.long 0xD9FE0000, 0x2000000F
.long 0xD9FE0010, 0x2400000F
.long 0x24200082
.long 0xE05C1000, 0x800F2810
.long 0xE05C1010, 0x800F2C10
.long 0x8E468226
.long 0x80144614
	;; [unrolled: 1-line block ×3, first 2 shown]
.long 0xE05C1000, 0x8005380E
.long 0xE05C1010, 0x80053C0E
	;; [unrolled: 1-line block ×19, first 2 shown]
.long 0xBF800001
.long 0x0A60602C
	;; [unrolled: 1-line block ×18, first 2 shown]
.long 0xD0CC0030, 0x0001003E
.long 0xD1000028, 0x00C250F2
	;; [unrolled: 1-line block ×28, first 2 shown]
.long 0xBEC41E3A
.long 0x7E600304
	;; [unrolled: 1-line block ×9, first 2 shown]
.long 0xE07C1000, 0x8004300D
.long 0xE07C1010, 0x8004340D
.long 0xBF8C0F71
.long 0xD0CC0030, 0x0001003E
.long 0xD1000028, 0x00C250F2
	;; [unrolled: 1-line block ×28, first 2 shown]
.long 0xBEC41E3A
.long 0x7E800304
	;; [unrolled: 1-line block ×12, first 2 shown]
.long 0xE07C1000, 0x8004400D
.long 0xE07C1010, 0x8004440D
.long 0xBF800000
.long 0x8E468226
	;; [unrolled: 1-line block ×4, first 2 shown]
.long 0xE05C1000, 0x8005180E
.long 0xE05C1010, 0x80051C0E
	;; [unrolled: 1-line block ×4, first 2 shown]
.long 0x241E1E82
.long 0xD9FE0000, 0x2000000F
.long 0xD9FE0010, 0x2400000F
	;; [unrolled: 1-line block ×4, first 2 shown]
.long 0x8E468226
.long 0x80144614
	;; [unrolled: 1-line block ×3, first 2 shown]
.long 0xE05C1000, 0x8005380E
.long 0xE05C1010, 0x80053C0E
	;; [unrolled: 1-line block ×18, first 2 shown]
.long 0xBF800001
.long 0x0A60602C
	;; [unrolled: 1-line block ×18, first 2 shown]
.long 0xD0CC0030, 0x0001003E
.long 0xD1000028, 0x00C250F2
	;; [unrolled: 1-line block ×28, first 2 shown]
.long 0xBEC41E3A
.long 0x7E600304
	;; [unrolled: 1-line block ×12, first 2 shown]
.long 0xE07C1000, 0x8004300D
.long 0xE07C1010, 0x8004340D
.long 0xBF8C0F71
.long 0xD0CC0030, 0x0001003E
.long 0xD1000028, 0x00C250F2
	;; [unrolled: 1-line block ×28, first 2 shown]
.long 0xBEC41E3A
.long 0x7E800304
	;; [unrolled: 1-line block ×12, first 2 shown]
.long 0xE07C1000, 0x8004400D
.long 0xE07C1010, 0x8004440D
.long 0xBF800000
.long 0x9246FF26, 0x00000074
.long 0x80144614
.long 0x82158015
.long 0xE05C1000, 0x8005180E
.long 0xE05C1010, 0x80051C0E
	;; [unrolled: 1-line block ×4, first 2 shown]
.long 0x241E1E82
.long 0xD9FE0000, 0x2000000F
.long 0xD9FE0010, 0x2400000F
	;; [unrolled: 1-line block ×4, first 2 shown]
.long 0x8E468226
.long 0x80144614
	;; [unrolled: 1-line block ×3, first 2 shown]
.long 0xE05C1000, 0x8005380E
.long 0xE05C1010, 0x80053C0E
	;; [unrolled: 1-line block ×18, first 2 shown]
.long 0xBF800001
.long 0x0A60602C
	;; [unrolled: 1-line block ×18, first 2 shown]
.long 0xD0CC0030, 0x0001003E
.long 0xD1000028, 0x00C250F2
	;; [unrolled: 1-line block ×28, first 2 shown]
.long 0xBEC41E3A
.long 0x7E600304
	;; [unrolled: 1-line block ×9, first 2 shown]
.long 0x9246FF24, 0x00000074
.long 0x80104610
.long 0x82118011
.long 0xE07C1000, 0x8004300D
.long 0xE07C1010, 0x8004340D
.long 0xBF8C0F71
.long 0xD0CC0030, 0x0001003E
.long 0xD1000028, 0x00C250F2
	;; [unrolled: 1-line block ×28, first 2 shown]
.long 0xBEC41E3A
.long 0x7E800304
	;; [unrolled: 1-line block ×12, first 2 shown]
.long 0xE07C1000, 0x8004400D
.long 0xE07C1010, 0x8004440D
.long 0xBF800000
.long 0x8E468226
	;; [unrolled: 1-line block ×4, first 2 shown]
.long 0xE05C1000, 0x8005180E
.long 0xE05C1010, 0x80051C0E
	;; [unrolled: 1-line block ×4, first 2 shown]
.long 0x241E1E82
.long 0xD9FE0000, 0x2000000F
.long 0xD9FE0010, 0x2400000F
	;; [unrolled: 1-line block ×4, first 2 shown]
.long 0x8E468226
.long 0x80144614
	;; [unrolled: 1-line block ×3, first 2 shown]
.long 0xE05C1000, 0x8005380E
.long 0xE05C1010, 0x80053C0E
	;; [unrolled: 1-line block ×18, first 2 shown]
.long 0xBF800001
.long 0x0A60602C
	;; [unrolled: 1-line block ×18, first 2 shown]
.long 0xD0CC0030, 0x0001003E
.long 0xD1000028, 0x00C250F2
	;; [unrolled: 1-line block ×28, first 2 shown]
.long 0xBEC41E3A
.long 0x7E600304
	;; [unrolled: 1-line block ×12, first 2 shown]
.long 0xE07C1000, 0x8004300D
.long 0xE07C1010, 0x8004340D
.long 0xBF8C0F71
.long 0xD0CC0030, 0x0001003E
.long 0xD1000028, 0x00C250F2
	;; [unrolled: 1-line block ×28, first 2 shown]
.long 0xBEC41E3A
.long 0x7E800304
	;; [unrolled: 1-line block ×12, first 2 shown]
.long 0xE07C1000, 0x8004400D
.long 0xE07C1010, 0x8004440D
.long 0xBF800000
.long 0x9246FF26, 0x00000074
.long 0x80144614
.long 0x82158015
.long 0xE05C1000, 0x8005180E
.long 0xE05C1010, 0x80051C0E
	;; [unrolled: 1-line block ×4, first 2 shown]
.long 0x241E1E82
.long 0xD9FE0000, 0x2000000F
.long 0xD9FE0010, 0x2400000F
	;; [unrolled: 1-line block ×4, first 2 shown]
.long 0x8E468226
.long 0x80144614
	;; [unrolled: 1-line block ×3, first 2 shown]
.long 0xE05C1000, 0x8005380E
.long 0xE05C1010, 0x80053C0E
	;; [unrolled: 1-line block ×18, first 2 shown]
.long 0xBF800001
.long 0x0A60602C
	;; [unrolled: 1-line block ×18, first 2 shown]
.long 0xD0CC0030, 0x0001003E
.long 0xD1000028, 0x00C250F2
	;; [unrolled: 1-line block ×28, first 2 shown]
.long 0xBEC41E3A
.long 0x7E600304
	;; [unrolled: 1-line block ×9, first 2 shown]
.long 0x9246FF24, 0x00000074
.long 0x80104610
.long 0x82118011
.long 0xE07C1000, 0x8004300D
.long 0xE07C1010, 0x8004340D
.long 0xBF8C0F71
.long 0xD0CC0030, 0x0001003E
.long 0xD1000028, 0x00C250F2
	;; [unrolled: 1-line block ×28, first 2 shown]
.long 0xBEC41E3A
.long 0x7E800304
	;; [unrolled: 1-line block ×12, first 2 shown]
.long 0xE07C1000, 0x8004400D
.long 0xE07C1010, 0x8004440D
.long 0xBF800000
.long 0x8E468226
.long 0x80144614
.long 0x82158015
.long 0xE05C1000, 0x8005180E
.long 0xE05C1010, 0x80051C0E
	;; [unrolled: 1-line block ×4, first 2 shown]
.long 0x241E1E82
.long 0xD9FE0000, 0x2000000F
.long 0xD9FE0010, 0x2400000F
	;; [unrolled: 1-line block ×4, first 2 shown]
.long 0x8E468226
.long 0x80144614
.long 0x82158015
.long 0xE05C1000, 0x8005380E
.long 0xE05C1010, 0x80053C0E
	;; [unrolled: 1-line block ×18, first 2 shown]
.long 0xBF800001
.long 0x0A60602C
	;; [unrolled: 1-line block ×18, first 2 shown]
.long 0xD0CC0030, 0x0001003E
.long 0xD1000028, 0x00C250F2
	;; [unrolled: 1-line block ×28, first 2 shown]
.long 0xBEC41E3A
.long 0x7E600304
	;; [unrolled: 1-line block ×12, first 2 shown]
.long 0xE07C1000, 0x8004300D
.long 0xE07C1010, 0x8004340D
.long 0xBF8C0F71
.long 0xD0CC0030, 0x0001003E
.long 0xD1000028, 0x00C250F2
	;; [unrolled: 1-line block ×28, first 2 shown]
.long 0xBEC41E3A
.long 0x7E800304
	;; [unrolled: 1-line block ×12, first 2 shown]
.long 0xE07C1000, 0x8004400D
.long 0xE07C1010, 0x8004440D
.long 0xBF800000
.long 0x9246FF26, 0x00000074
.long 0x80144614
.long 0x82158015
.long 0xE05C1000, 0x8005180E
.long 0xE05C1010, 0x80051C0E
	;; [unrolled: 1-line block ×4, first 2 shown]
.long 0x241E1E82
.long 0xD9FE0000, 0x2000000F
.long 0xD9FE0010, 0x2400000F
	;; [unrolled: 1-line block ×4, first 2 shown]
.long 0x8E468226
.long 0x80144614
	;; [unrolled: 1-line block ×3, first 2 shown]
.long 0xE05C1000, 0x8005380E
.long 0xE05C1010, 0x80053C0E
.long 0xD3D84030, 0x18000160
.long 0xD3D84031, 0x18000164
.long 0xD3D84032, 0x18000168
.long 0xD3D84033, 0x1800016C
.long 0xD3D84034, 0x18000170
.long 0xD3D84035, 0x18000174
.long 0xD3D84036, 0x18000178
.long 0xD3D84037, 0x1800017C
.long 0xD3D84040, 0x18000161
.long 0xD3D84041, 0x18000165
.long 0xD3D84042, 0x18000169
.long 0xD3D84043, 0x1800016D
.long 0xD3D84044, 0x18000171
.long 0xD3D84045, 0x18000175
.long 0xD3D84046, 0x18000179
.long 0xD3D84047, 0x1800017D
.long 0xBF800001
.long 0x0A60602C
	;; [unrolled: 1-line block ×18, first 2 shown]
.long 0xD0CC0030, 0x0001003E
.long 0xD1000028, 0x00C250F2
	;; [unrolled: 1-line block ×28, first 2 shown]
.long 0xBEC41E3A
.long 0x7E600304
	;; [unrolled: 1-line block ×9, first 2 shown]
.long 0x9246FF24, 0x00000074
.long 0x80104610
.long 0x82118011
.long 0xE07C1000, 0x8004300D
.long 0xE07C1010, 0x8004340D
.long 0xBF8C0F71
.long 0xD0CC0030, 0x0001003E
.long 0xD1000028, 0x00C250F2
	;; [unrolled: 1-line block ×28, first 2 shown]
.long 0xBEC41E3A
.long 0x7E800304
	;; [unrolled: 1-line block ×12, first 2 shown]
.long 0xE07C1000, 0x8004400D
.long 0xE07C1010, 0x8004440D
.long 0xBF800000
.long 0x8E468226
	;; [unrolled: 1-line block ×4, first 2 shown]
.long 0xE05C1000, 0x8005180E
.long 0xE05C1010, 0x80051C0E
	;; [unrolled: 1-line block ×4, first 2 shown]
.long 0x241E1E82
.long 0xD9FE0000, 0x2000000F
.long 0xD9FE0010, 0x2400000F
	;; [unrolled: 1-line block ×4, first 2 shown]
.long 0x8E468226
.long 0x80144614
	;; [unrolled: 1-line block ×3, first 2 shown]
.long 0xE05C1000, 0x8005380E
.long 0xE05C1010, 0x80053C0E
	;; [unrolled: 1-line block ×18, first 2 shown]
.long 0xBF800001
.long 0x0A60602C
	;; [unrolled: 1-line block ×18, first 2 shown]
.long 0xD0CC0030, 0x0001003E
.long 0xD1000028, 0x00C250F2
	;; [unrolled: 1-line block ×28, first 2 shown]
.long 0xBEC41E3A
.long 0x7E600304
	;; [unrolled: 1-line block ×12, first 2 shown]
.long 0xE07C1000, 0x8004300D
.long 0xE07C1010, 0x8004340D
.long 0xBF8C0F71
.long 0xD0CC0030, 0x0001003E
.long 0xD1000028, 0x00C250F2
.long 0xD1000029, 0x00C252F2
.long 0xD3B14040, 0x18028128
.long 0xD0CC0030, 0x0001003E
.long 0xD100002A, 0x00C254F2
.long 0xD100002B, 0x00C256F2
.long 0xD3B14042, 0x1802852A
.long 0xD0CC0030, 0x0001003E
.long 0xD100002C, 0x00C258F2
.long 0xD100002D, 0x00C25AF2
.long 0xD3B14044, 0x1802892C
.long 0xD0CC0030, 0x0001003E
.long 0xD100002E, 0x00C25CF2
.long 0xD100002F, 0x00C25EF2
.long 0xD3B14046, 0x18028D2E
.long 0xD13B0040, 0x00005B38
.long 0xD13B0041, 0x00005B39
.long 0xD13B0042, 0x00005B3A
.long 0xD13B0043, 0x00005B3B
.long 0xD13B0044, 0x00005B3C
.long 0xD13B0045, 0x00005B3D
.long 0xD13B0046, 0x00005B3E
.long 0xD13B0047, 0x00005B3F
.long 0xD3B24004, 0x18028120
.long 0xD3B24006, 0x18028522
.long 0xD3B24008, 0x18028924
.long 0xD3B2400A, 0x18028D26
.long 0xBEC41E3A
.long 0x7E800304
	;; [unrolled: 1-line block ×12, first 2 shown]
.long 0xE07C1000, 0x8004400D
.long 0xE07C1010, 0x8004440D
.long 0xBF800000
.long 0x9246FF26, 0x00000074
.long 0x80144614
.long 0x82158015
.long 0xE05C1000, 0x8005180E
.long 0xE05C1010, 0x80051C0E
	;; [unrolled: 1-line block ×4, first 2 shown]
.long 0x241E1E82
.long 0xD9FE0000, 0x2000000F
.long 0xD9FE0010, 0x2400000F
	;; [unrolled: 1-line block ×4, first 2 shown]
.long 0x8E468226
.long 0x80144614
	;; [unrolled: 1-line block ×3, first 2 shown]
.long 0xE05C1000, 0x8005380E
.long 0xE05C1010, 0x80053C0E
	;; [unrolled: 1-line block ×18, first 2 shown]
.long 0xBF800001
.long 0x0A60602C
	;; [unrolled: 1-line block ×18, first 2 shown]
.long 0xD0CC0030, 0x0001003E
.long 0xD1000028, 0x00C250F2
	;; [unrolled: 1-line block ×28, first 2 shown]
.long 0xBEC41E3A
.long 0x7E600304
	;; [unrolled: 1-line block ×9, first 2 shown]
.long 0x9246FF24, 0x00000074
.long 0x80104610
.long 0x82118011
.long 0xE07C1000, 0x8004300D
.long 0xE07C1010, 0x8004340D
.long 0xBF8C0F71
.long 0xD0CC0030, 0x0001003E
.long 0xD1000028, 0x00C250F2
.long 0xD1000029, 0x00C252F2
.long 0xD3B14040, 0x18028128
.long 0xD0CC0030, 0x0001003E
.long 0xD100002A, 0x00C254F2
.long 0xD100002B, 0x00C256F2
.long 0xD3B14042, 0x1802852A
.long 0xD0CC0030, 0x0001003E
.long 0xD100002C, 0x00C258F2
.long 0xD100002D, 0x00C25AF2
.long 0xD3B14044, 0x1802892C
.long 0xD0CC0030, 0x0001003E
.long 0xD100002E, 0x00C25CF2
.long 0xD100002F, 0x00C25EF2
.long 0xD3B14046, 0x18028D2E
.long 0xD13B0040, 0x00005B38
.long 0xD13B0041, 0x00005B39
.long 0xD13B0042, 0x00005B3A
.long 0xD13B0043, 0x00005B3B
.long 0xD13B0044, 0x00005B3C
.long 0xD13B0045, 0x00005B3D
.long 0xD13B0046, 0x00005B3E
.long 0xD13B0047, 0x00005B3F
.long 0xD3B24004, 0x18028120
.long 0xD3B24006, 0x18028522
.long 0xD3B24008, 0x18028924
.long 0xD3B2400A, 0x18028D26
.long 0xBEC41E3A
.long 0x7E800304
.long 0x7E820305
.long 0x7E840306
.long 0x7E860307
.long 0x7E880308
.long 0x7E8A0309
.long 0x7E8C030A
.long 0x7E8E030B
.long 0x8E468224
.long 0x80104610
.long 0x82118011
.long 0xE07C1000, 0x8004400D
.long 0xE07C1010, 0x8004440D
.long 0xBF800000
.long 0x8E468226
.long 0x80144614
.long 0x82158015
.long 0xE05C1000, 0x8005180E
.long 0xE05C1010, 0x80051C0E
	;; [unrolled: 1-line block ×4, first 2 shown]
.long 0x241E1E82
.long 0xD9FE0000, 0x2000000F
.long 0xD9FE0010, 0x2400000F
	;; [unrolled: 1-line block ×4, first 2 shown]
.long 0x8E468226
.long 0x80144614
	;; [unrolled: 1-line block ×3, first 2 shown]
.long 0xE05C1000, 0x8005380E
.long 0xE05C1010, 0x80053C0E
	;; [unrolled: 1-line block ×18, first 2 shown]
.long 0xBF800001
.long 0x0A60602C
	;; [unrolled: 1-line block ×18, first 2 shown]
.long 0xD0CC0030, 0x0001003E
.long 0xD1000028, 0x00C250F2
	;; [unrolled: 1-line block ×28, first 2 shown]
.long 0xBEC41E3A
.long 0x7E600304
	;; [unrolled: 1-line block ×12, first 2 shown]
.long 0xE07C1000, 0x8004300D
.long 0xE07C1010, 0x8004340D
.long 0xBF8C0F71
.long 0xD0CC0030, 0x0001003E
.long 0xD1000028, 0x00C250F2
	;; [unrolled: 1-line block ×28, first 2 shown]
.long 0xBEC41E3A
.long 0x7E800304
	;; [unrolled: 1-line block ×12, first 2 shown]
.long 0xE07C1000, 0x8004400D
.long 0xE07C1010, 0x8004440D
.long 0xBF800000
.long 0x9246FF26, 0x00000074
.long 0x80144614
.long 0x82158015
.long 0xE05C1000, 0x8005180E
.long 0xE05C1010, 0x80051C0E
	;; [unrolled: 1-line block ×4, first 2 shown]
.long 0x241E1E82
.long 0xD9FE0000, 0x2000000F
.long 0xD9FE0010, 0x2400000F
	;; [unrolled: 1-line block ×4, first 2 shown]
.long 0x8E468226
.long 0x80144614
	;; [unrolled: 1-line block ×3, first 2 shown]
.long 0xE05C1000, 0x8005380E
.long 0xE05C1010, 0x80053C0E
	;; [unrolled: 1-line block ×18, first 2 shown]
.long 0xBF800001
.long 0x0A60602C
	;; [unrolled: 1-line block ×18, first 2 shown]
.long 0xD0CC0030, 0x0001003E
.long 0xD1000028, 0x00C250F2
	;; [unrolled: 1-line block ×28, first 2 shown]
.long 0xBEC41E3A
.long 0x7E600304
	;; [unrolled: 1-line block ×9, first 2 shown]
.long 0x9246FF24, 0x00000074
.long 0x80104610
.long 0x82118011
.long 0xE07C1000, 0x8004300D
.long 0xE07C1010, 0x8004340D
.long 0xBF8C0F71
.long 0xD0CC0030, 0x0001003E
.long 0xD1000028, 0x00C250F2
	;; [unrolled: 1-line block ×28, first 2 shown]
.long 0xBEC41E3A
.long 0x7E800304
	;; [unrolled: 1-line block ×12, first 2 shown]
.long 0xE07C1000, 0x8004400D
.long 0xE07C1010, 0x8004440D
.long 0xBF800000
.long 0x8E468226
	;; [unrolled: 1-line block ×4, first 2 shown]
.long 0xE05C1000, 0x8005180E
.long 0xE05C1010, 0x80051C0E
	;; [unrolled: 1-line block ×4, first 2 shown]
.long 0x241E1E82
.long 0xD9FE0000, 0x2000000F
.long 0xD9FE0010, 0x2400000F
	;; [unrolled: 1-line block ×4, first 2 shown]
.long 0x8E468226
.long 0x80144614
	;; [unrolled: 1-line block ×3, first 2 shown]
.long 0xE05C1000, 0x8005380E
.long 0xE05C1010, 0x80053C0E
	;; [unrolled: 1-line block ×18, first 2 shown]
.long 0xBF800001
.long 0x0A60602C
	;; [unrolled: 1-line block ×18, first 2 shown]
.long 0xD0CC0030, 0x0001003E
.long 0xD1000028, 0x00C250F2
	;; [unrolled: 1-line block ×28, first 2 shown]
.long 0xBEC41E3A
.long 0x7E600304
	;; [unrolled: 1-line block ×12, first 2 shown]
.long 0xE07C1000, 0x8004300D
.long 0xE07C1010, 0x8004340D
.long 0xBF8C0F71
.long 0xD0CC0030, 0x0001003E
.long 0xD1000028, 0x00C250F2
	;; [unrolled: 1-line block ×28, first 2 shown]
.long 0xBEC41E3A
.long 0x7E800304
	;; [unrolled: 1-line block ×12, first 2 shown]
.long 0xE07C1000, 0x8004400D
.long 0xE07C1010, 0x8004440D
.long 0xBF800000
.long 0x9246FF26, 0x00000074
.long 0x80144614
.long 0x82158015
.long 0xE05C1000, 0x8005180E
.long 0xE05C1010, 0x80051C0E
	;; [unrolled: 1-line block ×4, first 2 shown]
.long 0x241E1E82
.long 0xD9FE0000, 0x2000000F
.long 0xD9FE0010, 0x2400000F
	;; [unrolled: 1-line block ×4, first 2 shown]
.long 0x8E468226
.long 0x80144614
	;; [unrolled: 1-line block ×3, first 2 shown]
.long 0xE05C1000, 0x8005380E
.long 0xE05C1010, 0x80053C0E
	;; [unrolled: 1-line block ×18, first 2 shown]
.long 0xBF800001
.long 0x0A60602C
	;; [unrolled: 1-line block ×18, first 2 shown]
.long 0xD0CC0030, 0x0001003E
.long 0xD1000028, 0x00C250F2
	;; [unrolled: 1-line block ×28, first 2 shown]
.long 0xBEC41E3A
.long 0x7E600304
	;; [unrolled: 1-line block ×9, first 2 shown]
.long 0x9246FF24, 0x00000074
.long 0x80104610
.long 0x82118011
.long 0xE07C1000, 0x8004300D
.long 0xE07C1010, 0x8004340D
.long 0xBF8C0F71
.long 0xD0CC0030, 0x0001003E
.long 0xD1000028, 0x00C250F2
	;; [unrolled: 1-line block ×28, first 2 shown]
.long 0xBEC41E3A
.long 0x7E800304
.long 0x7E820305
.long 0x7E840306
.long 0x7E860307
.long 0x7E880308
.long 0x7E8A0309
.long 0x7E8C030A
.long 0x7E8E030B
.long 0x8E468224
.long 0x80104610
.long 0x82118011
.long 0xE07C1000, 0x8004400D
.long 0xE07C1010, 0x8004440D
.long 0xBF800000
.long 0x8E468226
	;; [unrolled: 1-line block ×4, first 2 shown]
.long 0xE05C1000, 0x8005180E
.long 0xE05C1010, 0x80051C0E
	;; [unrolled: 1-line block ×4, first 2 shown]
.long 0x241E1E82
.long 0xD9FE0000, 0x2000000F
.long 0xD9FE0010, 0x2400000F
	;; [unrolled: 1-line block ×4, first 2 shown]
.long 0x8E468226
.long 0x80144614
	;; [unrolled: 1-line block ×3, first 2 shown]
.long 0xE05C1000, 0x8005380E
.long 0xE05C1010, 0x80053C0E
	;; [unrolled: 1-line block ×18, first 2 shown]
.long 0xBF800001
.long 0x0A60602C
	;; [unrolled: 1-line block ×18, first 2 shown]
.long 0xD0CC0030, 0x0001003E
.long 0xD1000028, 0x00C250F2
	;; [unrolled: 1-line block ×28, first 2 shown]
.long 0xBEC41E3A
.long 0x7E600304
	;; [unrolled: 1-line block ×12, first 2 shown]
.long 0xE07C1000, 0x8004300D
.long 0xE07C1010, 0x8004340D
.long 0xBF8C0F71
.long 0xD0CC0030, 0x0001003E
.long 0xD1000028, 0x00C250F2
	;; [unrolled: 1-line block ×28, first 2 shown]
.long 0xBEC41E3A
.long 0x7E800304
	;; [unrolled: 1-line block ×12, first 2 shown]
.long 0xE07C1000, 0x8004400D
.long 0xE07C1010, 0x8004440D
.long 0xBF800000
.long 0x9246FF26, 0x00000074
.long 0x80144614
.long 0x82158015
.long 0xE05C1000, 0x8005180E
.long 0xE05C1010, 0x80051C0E
.long 0x924602FF, 0x00000100
.long 0xD135000F, 0x00008D00
.long 0x241E1E82
.long 0xD9FE0000, 0x2000000F
.long 0xD9FE0010, 0x2400000F
	;; [unrolled: 1-line block ×4, first 2 shown]
.long 0x8E468226
.long 0x80144614
	;; [unrolled: 1-line block ×3, first 2 shown]
.long 0xE05C1000, 0x8005380E
.long 0xE05C1010, 0x80053C0E
	;; [unrolled: 1-line block ×18, first 2 shown]
.long 0xBF800001
.long 0x0A60602C
	;; [unrolled: 1-line block ×18, first 2 shown]
.long 0xD0CC0030, 0x0001003E
.long 0xD1000028, 0x00C250F2
.long 0xD1000029, 0x00C252F2
.long 0xD3B14030, 0x18026128
.long 0xD0CC0030, 0x0001003E
.long 0xD100002A, 0x00C254F2
.long 0xD100002B, 0x00C256F2
.long 0xD3B14032, 0x1802652A
.long 0xD0CC0030, 0x0001003E
.long 0xD100002C, 0x00C258F2
.long 0xD100002D, 0x00C25AF2
.long 0xD3B14034, 0x1802692C
.long 0xD0CC0030, 0x0001003E
.long 0xD100002E, 0x00C25CF2
.long 0xD100002F, 0x00C25EF2
.long 0xD3B14036, 0x18026D2E
.long 0xD13B0030, 0x00005B18
.long 0xD13B0031, 0x00005B19
.long 0xD13B0032, 0x00005B1A
.long 0xD13B0033, 0x00005B1B
.long 0xD13B0034, 0x00005B1C
.long 0xD13B0035, 0x00005B1D
.long 0xD13B0036, 0x00005B1E
.long 0xD13B0037, 0x00005B1F
.long 0xD3B24004, 0x18026120
.long 0xD3B24006, 0x18026522
.long 0xD3B24008, 0x18026924
.long 0xD3B2400A, 0x18026D26
.long 0xBEC41E3A
.long 0x7E600304
.long 0x7E620305
.long 0x7E640306
.long 0x7E660307
.long 0x7E680308
.long 0x7E6A0309
.long 0x7E6C030A
.long 0x7E6E030B
.long 0x9246FF24, 0x00000074
.long 0x80104610
.long 0x82118011
.long 0xE07C1000, 0x8004300D
.long 0xE07C1010, 0x8004340D
.long 0xBF8C0F71
.long 0xD0CC0030, 0x0001003E
.long 0xD1000028, 0x00C250F2
	;; [unrolled: 1-line block ×28, first 2 shown]
.long 0xBEC41E3A
.long 0x7E800304
	;; [unrolled: 1-line block ×12, first 2 shown]
.long 0xE07C1000, 0x8004400D
.long 0xE07C1010, 0x8004440D
.long 0xBF800000
.long 0x8E468226
	;; [unrolled: 1-line block ×4, first 2 shown]
.long 0xE05C1000, 0x8005180E
.long 0xE05C1010, 0x80051C0E
	;; [unrolled: 1-line block ×4, first 2 shown]
.long 0x241E1E82
.long 0xD9FE0000, 0x2000000F
.long 0xD9FE0010, 0x2400000F
	;; [unrolled: 1-line block ×4, first 2 shown]
.long 0x8E468226
.long 0x80144614
	;; [unrolled: 1-line block ×3, first 2 shown]
.long 0xE05C1000, 0x8005380E
.long 0xE05C1010, 0x80053C0E
.long 0xD3D84030, 0x180001E2
.long 0xD3D84031, 0x180001E6
.long 0xD3D84032, 0x180001EA
.long 0xD3D84033, 0x180001EE
.long 0xD3D84034, 0x180001F2
.long 0xD3D84035, 0x180001F6
.long 0xD3D84036, 0x180001FA
.long 0xD3D84037, 0x180001FE
.long 0xD3D84040, 0x180001E3
.long 0xD3D84041, 0x180001E7
.long 0xD3D84042, 0x180001EB
.long 0xD3D84043, 0x180001EF
.long 0xD3D84044, 0x180001F3
.long 0xD3D84045, 0x180001F7
.long 0xD3D84046, 0x180001FB
.long 0xD3D84047, 0x180001FF
.long 0xBF800001
.long 0x0A60602C
	;; [unrolled: 1-line block ×18, first 2 shown]
.long 0xD0CC0030, 0x0001003E
.long 0xD1000028, 0x00C250F2
.long 0xD1000029, 0x00C252F2
.long 0xD3B14030, 0x18026128
.long 0xD0CC0030, 0x0001003E
.long 0xD100002A, 0x00C254F2
.long 0xD100002B, 0x00C256F2
.long 0xD3B14032, 0x1802652A
.long 0xD0CC0030, 0x0001003E
.long 0xD100002C, 0x00C258F2
.long 0xD100002D, 0x00C25AF2
.long 0xD3B14034, 0x1802692C
.long 0xD0CC0030, 0x0001003E
.long 0xD100002E, 0x00C25CF2
.long 0xD100002F, 0x00C25EF2
.long 0xD3B14036, 0x18026D2E
.long 0xD13B0030, 0x00005B18
.long 0xD13B0031, 0x00005B19
.long 0xD13B0032, 0x00005B1A
.long 0xD13B0033, 0x00005B1B
.long 0xD13B0034, 0x00005B1C
.long 0xD13B0035, 0x00005B1D
.long 0xD13B0036, 0x00005B1E
.long 0xD13B0037, 0x00005B1F
.long 0xD3B24004, 0x18026120
.long 0xD3B24006, 0x18026522
.long 0xD3B24008, 0x18026924
.long 0xD3B2400A, 0x18026D26
.long 0xBEC41E3A
.long 0x7E600304
	;; [unrolled: 1-line block ×12, first 2 shown]
.long 0xE07C1000, 0x8004300D
.long 0xE07C1010, 0x8004340D
.long 0xBF8C0F71
.long 0xD0CC0030, 0x0001003E
.long 0xD1000028, 0x00C250F2
	;; [unrolled: 1-line block ×28, first 2 shown]
.long 0xBEC41E3A
.long 0x7E800304
.long 0x7E820305
.long 0x7E840306
.long 0x7E860307
.long 0x7E880308
.long 0x7E8A0309
.long 0x7E8C030A
.long 0x7E8E030B
.long 0x8E468224
.long 0x80104610
.long 0x82118011
.long 0xE07C1000, 0x8004400D
.long 0xE07C1010, 0x8004440D
.long 0xBF800000
.long 0x9246FF26, 0x00000074
.long 0x80144614
.long 0x82158015
.long 0xE05C1000, 0x8005180E
.long 0xE05C1010, 0x80051C0E
	;; [unrolled: 1-line block ×4, first 2 shown]
.long 0x241E1E82
.long 0xD9FE0000, 0x2000000F
.long 0xD9FE0010, 0x2400000F
	;; [unrolled: 1-line block ×4, first 2 shown]
.long 0x8E468226
.long 0x80144614
	;; [unrolled: 1-line block ×3, first 2 shown]
.long 0xE05C1000, 0x8005380E
.long 0xE05C1010, 0x80053C0E
.long 0x7E6003A0
.long 0x7E6203A4
	;; [unrolled: 1-line block ×34, first 2 shown]
.long 0xD0CC0030, 0x0001003E
.long 0xD1000028, 0x00C250F2
	;; [unrolled: 1-line block ×28, first 2 shown]
.long 0xBEC41E3A
.long 0x7E600304
	;; [unrolled: 1-line block ×9, first 2 shown]
.long 0x9246FF24, 0x00000074
.long 0x80104610
.long 0x82118011
.long 0xE07C1000, 0x8004300D
.long 0xE07C1010, 0x8004340D
.long 0xBF8C0F71
.long 0xD0CC0030, 0x0001003E
.long 0xD1000028, 0x00C250F2
	;; [unrolled: 1-line block ×28, first 2 shown]
.long 0xBEC41E3A
.long 0x7E800304
	;; [unrolled: 1-line block ×12, first 2 shown]
.long 0xE07C1000, 0x8004400D
.long 0xE07C1010, 0x8004440D
.long 0xBF800000
.long 0x8E468226
	;; [unrolled: 1-line block ×4, first 2 shown]
.long 0xE05C1000, 0x8005180E
.long 0xE05C1010, 0x80051C0E
	;; [unrolled: 1-line block ×4, first 2 shown]
.long 0x241E1E82
.long 0xD9FE0000, 0x2000000F
.long 0xD9FE0010, 0x2400000F
	;; [unrolled: 1-line block ×4, first 2 shown]
.long 0x8E468226
.long 0x80144614
	;; [unrolled: 1-line block ×3, first 2 shown]
.long 0xE05C1000, 0x8005380E
.long 0xE05C1010, 0x80053C0E
.long 0x7E6003A2
.long 0x7E6203A6
	;; [unrolled: 1-line block ×34, first 2 shown]
.long 0xD0CC0030, 0x0001003E
.long 0xD1000028, 0x00C250F2
.long 0xD1000029, 0x00C252F2
.long 0xD3B14030, 0x18026128
.long 0xD0CC0030, 0x0001003E
.long 0xD100002A, 0x00C254F2
.long 0xD100002B, 0x00C256F2
.long 0xD3B14032, 0x1802652A
.long 0xD0CC0030, 0x0001003E
.long 0xD100002C, 0x00C258F2
.long 0xD100002D, 0x00C25AF2
.long 0xD3B14034, 0x1802692C
.long 0xD0CC0030, 0x0001003E
.long 0xD100002E, 0x00C25CF2
.long 0xD100002F, 0x00C25EF2
.long 0xD3B14036, 0x18026D2E
.long 0xD13B0030, 0x00005B18
.long 0xD13B0031, 0x00005B19
.long 0xD13B0032, 0x00005B1A
.long 0xD13B0033, 0x00005B1B
.long 0xD13B0034, 0x00005B1C
.long 0xD13B0035, 0x00005B1D
.long 0xD13B0036, 0x00005B1E
.long 0xD13B0037, 0x00005B1F
.long 0xD3B24004, 0x18026120
.long 0xD3B24006, 0x18026522
.long 0xD3B24008, 0x18026924
.long 0xD3B2400A, 0x18026D26
.long 0xBEC41E3A
.long 0x7E600304
	;; [unrolled: 1-line block ×12, first 2 shown]
.long 0xE07C1000, 0x8004300D
.long 0xE07C1010, 0x8004340D
.long 0xBF8C0F71
.long 0xD0CC0030, 0x0001003E
.long 0xD1000028, 0x00C250F2
	;; [unrolled: 1-line block ×28, first 2 shown]
.long 0xBEC41E3A
.long 0x7E800304
	;; [unrolled: 1-line block ×12, first 2 shown]
.long 0xE07C1000, 0x8004400D
.long 0xE07C1010, 0x8004440D
.long 0xBF800000
.long 0x9246FF26, 0x00000074
.long 0x80144614
.long 0x82158015
.long 0xE05C1000, 0x8005180E
.long 0xE05C1010, 0x80051C0E
	;; [unrolled: 1-line block ×4, first 2 shown]
.long 0x241E1E82
.long 0xD9FE0000, 0x2000000F
.long 0xD9FE0010, 0x2400000F
	;; [unrolled: 1-line block ×4, first 2 shown]
.long 0x8E468226
.long 0x80144614
	;; [unrolled: 1-line block ×3, first 2 shown]
.long 0xE05C1000, 0x8005380E
.long 0xE05C1010, 0x80053C0E
.long 0x7E6003C0
.long 0x7E6203C4
	;; [unrolled: 1-line block ×34, first 2 shown]
.long 0xD0CC0030, 0x0001003E
.long 0xD1000028, 0x00C250F2
	;; [unrolled: 1-line block ×28, first 2 shown]
.long 0xBEC41E3A
.long 0x7E600304
.long 0x7E620305
.long 0x7E640306
.long 0x7E660307
.long 0x7E680308
.long 0x7E6A0309
.long 0x7E6C030A
.long 0x7E6E030B
.long 0x9246FF24, 0x00000074
.long 0x80104610
.long 0x82118011
.long 0xE07C1000, 0x8004300D
.long 0xE07C1010, 0x8004340D
.long 0xBF8C0F71
.long 0xD0CC0030, 0x0001003E
.long 0xD1000028, 0x00C250F2
	;; [unrolled: 1-line block ×28, first 2 shown]
.long 0xBEC41E3A
.long 0x7E800304
	;; [unrolled: 1-line block ×12, first 2 shown]
.long 0xE07C1000, 0x8004400D
.long 0xE07C1010, 0x8004440D
.long 0xBF800000
.long 0x8E468226
	;; [unrolled: 1-line block ×4, first 2 shown]
.long 0xE05C1000, 0x8005180E
.long 0xE05C1010, 0x80051C0E
	;; [unrolled: 1-line block ×4, first 2 shown]
.long 0x241E1E82
.long 0xD9FE0000, 0x2000000F
.long 0xD9FE0010, 0x2400000F
	;; [unrolled: 1-line block ×4, first 2 shown]
.long 0x8E468226
.long 0x80144614
	;; [unrolled: 1-line block ×3, first 2 shown]
.long 0xE05C1000, 0x8005380E
.long 0xE05C1010, 0x80053C0E
.long 0x7E6003C2
.long 0x7E6203C6
	;; [unrolled: 1-line block ×34, first 2 shown]
.long 0xD0CC0030, 0x0001003E
.long 0xD1000028, 0x00C250F2
	;; [unrolled: 1-line block ×28, first 2 shown]
.long 0xBEC41E3A
.long 0x7E600304
	;; [unrolled: 1-line block ×12, first 2 shown]
.long 0xE07C1000, 0x8004300D
.long 0xE07C1010, 0x8004340D
.long 0xBF8C0F71
.long 0xD0CC0030, 0x0001003E
.long 0xD1000028, 0x00C250F2
	;; [unrolled: 1-line block ×28, first 2 shown]
.long 0xBEC41E3A
.long 0x7E800304
	;; [unrolled: 1-line block ×12, first 2 shown]
.long 0xE07C1000, 0x8004400D
.long 0xE07C1010, 0x8004440D
.long 0xBF800000
.long 0x9246FF26, 0x00000074
.long 0x80144614
.long 0x82158015
.long 0xE05C1000, 0x8005180E
.long 0xE05C1010, 0x80051C0E
	;; [unrolled: 1-line block ×4, first 2 shown]
.long 0x241E1E82
.long 0xD9FE0000, 0x2000000F
.long 0xD9FE0010, 0x2400000F
	;; [unrolled: 1-line block ×4, first 2 shown]
.long 0x8E468226
.long 0x80144614
	;; [unrolled: 1-line block ×3, first 2 shown]
.long 0xE05C1000, 0x8005380E
.long 0xE05C1010, 0x80053C0E
.long 0x7E6003E0
.long 0x7E6203E4
	;; [unrolled: 1-line block ×34, first 2 shown]
.long 0xD0CC0030, 0x0001003E
.long 0xD1000028, 0x00C250F2
	;; [unrolled: 1-line block ×28, first 2 shown]
.long 0xBEC41E3A
.long 0x7E600304
	;; [unrolled: 1-line block ×9, first 2 shown]
.long 0x9246FF24, 0x00000074
.long 0x80104610
.long 0x82118011
.long 0xE07C1000, 0x8004300D
.long 0xE07C1010, 0x8004340D
.long 0xBF8C0F71
.long 0xD0CC0030, 0x0001003E
.long 0xD1000028, 0x00C250F2
	;; [unrolled: 1-line block ×28, first 2 shown]
.long 0xBEC41E3A
.long 0x7E800304
	;; [unrolled: 1-line block ×12, first 2 shown]
.long 0xE07C1000, 0x8004400D
.long 0xE07C1010, 0x8004440D
.long 0xBF800000
.long 0x8E468226
	;; [unrolled: 1-line block ×4, first 2 shown]
.long 0xE05C1000, 0x8005180E
.long 0xE05C1010, 0x80051C0E
	;; [unrolled: 1-line block ×4, first 2 shown]
.long 0x241E1E82
.long 0xD9FE0000, 0x2000000F
.long 0xD9FE0010, 0x2400000F
	;; [unrolled: 1-line block ×4, first 2 shown]
.long 0x8E468226
.long 0x80144614
	;; [unrolled: 1-line block ×3, first 2 shown]
.long 0xE05C1000, 0x8005380E
.long 0xE05C1010, 0x80053C0E
.long 0x7E6003E2
.long 0x7E6203E6
	;; [unrolled: 1-line block ×34, first 2 shown]
.long 0xD0CC0030, 0x0001003E
.long 0xD1000028, 0x00C250F2
	;; [unrolled: 1-line block ×28, first 2 shown]
.long 0xBEC41E3A
.long 0x7E600304
	;; [unrolled: 1-line block ×12, first 2 shown]
.long 0xE07C1000, 0x8004300D
.long 0xE07C1010, 0x8004340D
.long 0xBF8C0F71
.long 0xD0CC0030, 0x0001003E
.long 0xD1000028, 0x00C250F2
	;; [unrolled: 1-line block ×28, first 2 shown]
.long 0xBEC41E3A
.long 0x7E800304
	;; [unrolled: 1-line block ×12, first 2 shown]
.long 0xE07C1000, 0x8004400D
.long 0xE07C1010, 0x8004440D
.long 0xBF800000
.long 0xBF82161F
.long 0x7E6602FF, 0x80000000
.long 0xD0C90046, 0x00003100
	;; [unrolled: 1-line block ×3, first 2 shown]
.long 0x86CA4A46
.long 0xD1FE000D, 0x020A0102
.long 0xD100000D, 0x012A1B33
	;; [unrolled: 1-line block ×6, first 2 shown]
.long 0x241C1C82
.long 0xD100000E, 0x012A1D33
.long 0xBF8CC07F
.long 0xBF8A0000
.long 0xD9FE0000, 0x1800000E
.long 0xD9FE0010, 0x1C00000E
.long 0x241E0082
.long 0xE05C1000, 0x800F200F
.long 0xE05C1010, 0x800F240F
	;; [unrolled: 1-line block ×9, first 2 shown]
.long 0x86CA4A46
.long 0xD1FE0030, 0x020A0102
.long 0xD1000030, 0x012A6133
	;; [unrolled: 1-line block ×6, first 2 shown]
.long 0x24626282
.long 0xD1000031, 0x012A6333
.long 0x24640082
.long 0xD1FE0030, 0x020A0103
.long 0xD1000030, 0x012A6133
	;; [unrolled: 1-line block ×18, first 2 shown]
.long 0xBF800001
.long 0x0A50502C
	;; [unrolled: 1-line block ×18, first 2 shown]
.long 0xD0CC0030, 0x0001003E
.long 0xD1000020, 0x00C240F2
	;; [unrolled: 1-line block ×28, first 2 shown]
.long 0xBEC41E3A
.long 0x7E500304
	;; [unrolled: 1-line block ×9, first 2 shown]
.long 0xE07C1000, 0x8004280D
.long 0xE07C1010, 0x80042C0D
	;; [unrolled: 1-line block ×30, first 2 shown]
.long 0xBEC41E3A
.long 0x7E800304
.long 0x7E820305
.long 0x7E840306
.long 0x7E860307
.long 0x7E880308
.long 0x7E8A0309
.long 0x7E8C030A
.long 0x7E8E030B
.long 0xE07C1000, 0x80044030
.long 0xE07C1010, 0x80044430
.long 0xBF800000
.long 0x7E6602FF, 0x80000000
.long 0xD1196A01, 0x00010301
	;; [unrolled: 1-line block ×6, first 2 shown]
.long 0x86CA4A46
.long 0xD1FE000D, 0x020A0102
.long 0xD100000D, 0x012A1B33
	;; [unrolled: 1-line block ×6, first 2 shown]
.long 0x241C1C82
.long 0xD100000E, 0x012A1D33
.long 0xD9FE0000, 0x1800000E
	;; [unrolled: 1-line block ×3, first 2 shown]
.long 0x241E0082
.long 0xE05C1000, 0x800F200F
.long 0xE05C1010, 0x800F240F
	;; [unrolled: 1-line block ×9, first 2 shown]
.long 0x86CA4A46
.long 0xD1FE0030, 0x020A0102
.long 0xD1000030, 0x012A6133
	;; [unrolled: 1-line block ×6, first 2 shown]
.long 0x24626282
.long 0xD1000031, 0x012A6333
.long 0x24640082
.long 0xD1FE0030, 0x020A0103
.long 0xD1000030, 0x012A6133
	;; [unrolled: 1-line block ×18, first 2 shown]
.long 0xBF800001
.long 0x0A50502C
	;; [unrolled: 1-line block ×18, first 2 shown]
.long 0xD0CC0030, 0x0001003E
.long 0xD1000020, 0x00C240F2
	;; [unrolled: 1-line block ×28, first 2 shown]
.long 0xBEC41E3A
.long 0x7E500304
	;; [unrolled: 1-line block ×9, first 2 shown]
.long 0xE07C1000, 0x8004280D
.long 0xE07C1010, 0x80042C0D
	;; [unrolled: 1-line block ×30, first 2 shown]
.long 0xBEC41E3A
.long 0x7E800304
	;; [unrolled: 1-line block ×9, first 2 shown]
.long 0xE07C1000, 0x80044030
.long 0xE07C1010, 0x80044430
.long 0xBF800000
.long 0x7E6602FF, 0x80000000
.long 0xD1196A01, 0x00013B01
.long 0x92469D26
.long 0xD1340002, 0x00008D02
.long 0x92469D24
.long 0xD1340003, 0x00008D03
.long 0xD0C90046, 0x00003100
	;; [unrolled: 1-line block ×3, first 2 shown]
.long 0x86CA4A46
.long 0xD1FE000D, 0x020A0102
.long 0xD100000D, 0x012A1B33
	;; [unrolled: 1-line block ×6, first 2 shown]
.long 0x241C1C82
.long 0xD100000E, 0x012A1D33
.long 0xD9FE0000, 0x1800000E
	;; [unrolled: 1-line block ×3, first 2 shown]
.long 0x241E0082
.long 0xE05C1000, 0x800F200F
.long 0xE05C1010, 0x800F240F
	;; [unrolled: 1-line block ×9, first 2 shown]
.long 0x86CA4A46
.long 0xD1FE0030, 0x020A0102
.long 0xD1000030, 0x012A6133
	;; [unrolled: 1-line block ×6, first 2 shown]
.long 0x24626282
.long 0xD1000031, 0x012A6333
.long 0x24640082
.long 0xD1FE0030, 0x020A0103
.long 0xD1000030, 0x012A6133
	;; [unrolled: 1-line block ×18, first 2 shown]
.long 0xBF800001
.long 0x0A50502C
	;; [unrolled: 1-line block ×18, first 2 shown]
.long 0xD0CC0030, 0x0001003E
.long 0xD1000020, 0x00C240F2
	;; [unrolled: 1-line block ×28, first 2 shown]
.long 0xBEC41E3A
.long 0x7E500304
	;; [unrolled: 1-line block ×9, first 2 shown]
.long 0xE07C1000, 0x8004280D
.long 0xE07C1010, 0x80042C0D
	;; [unrolled: 1-line block ×30, first 2 shown]
.long 0xBEC41E3A
.long 0x7E800304
	;; [unrolled: 1-line block ×9, first 2 shown]
.long 0xE07C1000, 0x80044030
.long 0xE07C1010, 0x80044430
.long 0xBF800000
.long 0x7E6602FF, 0x80000000
.long 0xD1196A01, 0x00010301
	;; [unrolled: 1-line block ×6, first 2 shown]
.long 0x86CA4A46
.long 0xD1FE000D, 0x020A0102
.long 0xD100000D, 0x012A1B33
.long 0xE05C1000, 0x8005100D
.long 0xE05C1010, 0x8005140D
.long 0x924602FF, 0x00000100
.long 0xD135000E, 0x00008D00
.long 0x241C1C82
.long 0xD100000E, 0x012A1D33
.long 0xD9FE0000, 0x1800000E
	;; [unrolled: 1-line block ×3, first 2 shown]
.long 0x241E0082
.long 0xE05C1000, 0x800F200F
.long 0xE05C1010, 0x800F240F
	;; [unrolled: 1-line block ×9, first 2 shown]
.long 0x86CA4A46
.long 0xD1FE0030, 0x020A0102
.long 0xD1000030, 0x012A6133
	;; [unrolled: 1-line block ×6, first 2 shown]
.long 0x24626282
.long 0xD1000031, 0x012A6333
.long 0x24640082
.long 0xD1FE0030, 0x020A0103
.long 0xD1000030, 0x012A6133
	;; [unrolled: 1-line block ×18, first 2 shown]
.long 0xBF800001
.long 0x0A50502C
	;; [unrolled: 1-line block ×18, first 2 shown]
.long 0xD0CC0030, 0x0001003E
.long 0xD1000020, 0x00C240F2
	;; [unrolled: 1-line block ×28, first 2 shown]
.long 0xBEC41E3A
.long 0x7E500304
	;; [unrolled: 1-line block ×9, first 2 shown]
.long 0xE07C1000, 0x8004280D
.long 0xE07C1010, 0x80042C0D
.long 0xD0CC0030, 0x0001003E
.long 0xD1000020, 0x00C240F2
.long 0xD1000021, 0x00C242F2
.long 0xD3B14040, 0x18028120
.long 0xD0CC0030, 0x0001003E
.long 0xD1000022, 0x00C244F2
.long 0xD1000023, 0x00C246F2
.long 0xD3B14042, 0x18028522
.long 0xD0CC0030, 0x0001003E
.long 0xD1000024, 0x00C248F2
.long 0xD1000025, 0x00C24AF2
.long 0xD3B14044, 0x18028924
.long 0xD0CC0030, 0x0001003E
.long 0xD1000026, 0x00C24CF2
.long 0xD1000027, 0x00C24EF2
.long 0xD3B14046, 0x18028D26
.long 0xD13B0040, 0x00005B38
.long 0xD13B0041, 0x00005B39
.long 0xD13B0042, 0x00005B3A
.long 0xD13B0043, 0x00005B3B
.long 0xD13B0044, 0x00005B3C
.long 0xD13B0045, 0x00005B3D
.long 0xD13B0046, 0x00005B3E
.long 0xD13B0047, 0x00005B3F
.long 0xD3B24004, 0x18028118
.long 0xD3B24006, 0x1802851A
.long 0xD3B24008, 0x1802891C
.long 0xD3B2400A, 0x18028D1E
.long 0xBEC41E3A
.long 0x7E800304
	;; [unrolled: 1-line block ×9, first 2 shown]
.long 0xE07C1000, 0x80044030
.long 0xE07C1010, 0x80044430
.long 0xBF800000
.long 0x7E6602FF, 0x80000000
.long 0xD1196A01, 0x00013B01
.long 0x92469D26
.long 0xD1340002, 0x00008D02
.long 0x92469D24
.long 0xD1340003, 0x00008D03
.long 0xD0C90046, 0x00003100
	;; [unrolled: 1-line block ×3, first 2 shown]
.long 0x86CA4A46
.long 0xD1FE000D, 0x020A0102
.long 0xD100000D, 0x012A1B33
	;; [unrolled: 1-line block ×6, first 2 shown]
.long 0x241C1C82
.long 0xD100000E, 0x012A1D33
.long 0xD9FE0000, 0x1800000E
.long 0xD9FE0010, 0x1C00000E
.long 0x241E0082
.long 0xE05C1000, 0x800F200F
.long 0xE05C1010, 0x800F240F
	;; [unrolled: 1-line block ×9, first 2 shown]
.long 0x86CA4A46
.long 0xD1FE0030, 0x020A0102
.long 0xD1000030, 0x012A6133
	;; [unrolled: 1-line block ×6, first 2 shown]
.long 0x24626282
.long 0xD1000031, 0x012A6333
.long 0x24640082
.long 0xD1FE0030, 0x020A0103
.long 0xD1000030, 0x012A6133
	;; [unrolled: 1-line block ×18, first 2 shown]
.long 0xBF800001
.long 0x0A50502C
	;; [unrolled: 1-line block ×18, first 2 shown]
.long 0xD0CC0030, 0x0001003E
.long 0xD1000020, 0x00C240F2
	;; [unrolled: 1-line block ×28, first 2 shown]
.long 0xBEC41E3A
.long 0x7E500304
	;; [unrolled: 1-line block ×9, first 2 shown]
.long 0xE07C1000, 0x8004280D
.long 0xE07C1010, 0x80042C0D
	;; [unrolled: 1-line block ×30, first 2 shown]
.long 0xBEC41E3A
.long 0x7E800304
	;; [unrolled: 1-line block ×9, first 2 shown]
.long 0xE07C1000, 0x80044030
.long 0xE07C1010, 0x80044430
.long 0xBF800000
.long 0x7E6602FF, 0x80000000
.long 0xD1196A01, 0x00010301
	;; [unrolled: 1-line block ×6, first 2 shown]
.long 0x86CA4A46
.long 0xD1FE000D, 0x020A0102
.long 0xD100000D, 0x012A1B33
	;; [unrolled: 1-line block ×6, first 2 shown]
.long 0x241C1C82
.long 0xD100000E, 0x012A1D33
.long 0xD9FE0000, 0x1800000E
	;; [unrolled: 1-line block ×3, first 2 shown]
.long 0x241E0082
.long 0xE05C1000, 0x800F200F
.long 0xE05C1010, 0x800F240F
	;; [unrolled: 1-line block ×9, first 2 shown]
.long 0x86CA4A46
.long 0xD1FE0030, 0x020A0102
.long 0xD1000030, 0x012A6133
	;; [unrolled: 1-line block ×6, first 2 shown]
.long 0x24626282
.long 0xD1000031, 0x012A6333
.long 0x24640082
.long 0xD1FE0030, 0x020A0103
.long 0xD1000030, 0x012A6133
	;; [unrolled: 1-line block ×18, first 2 shown]
.long 0xBF800001
.long 0x0A50502C
	;; [unrolled: 1-line block ×18, first 2 shown]
.long 0xD0CC0030, 0x0001003E
.long 0xD1000020, 0x00C240F2
	;; [unrolled: 1-line block ×28, first 2 shown]
.long 0xBEC41E3A
.long 0x7E500304
	;; [unrolled: 1-line block ×9, first 2 shown]
.long 0xE07C1000, 0x8004280D
.long 0xE07C1010, 0x80042C0D
.long 0xD0CC0030, 0x0001003E
.long 0xD1000020, 0x00C240F2
.long 0xD1000021, 0x00C242F2
.long 0xD3B14040, 0x18028120
.long 0xD0CC0030, 0x0001003E
.long 0xD1000022, 0x00C244F2
.long 0xD1000023, 0x00C246F2
.long 0xD3B14042, 0x18028522
.long 0xD0CC0030, 0x0001003E
.long 0xD1000024, 0x00C248F2
.long 0xD1000025, 0x00C24AF2
.long 0xD3B14044, 0x18028924
.long 0xD0CC0030, 0x0001003E
.long 0xD1000026, 0x00C24CF2
.long 0xD1000027, 0x00C24EF2
.long 0xD3B14046, 0x18028D26
.long 0xD13B0040, 0x00005B38
.long 0xD13B0041, 0x00005B39
.long 0xD13B0042, 0x00005B3A
.long 0xD13B0043, 0x00005B3B
.long 0xD13B0044, 0x00005B3C
.long 0xD13B0045, 0x00005B3D
.long 0xD13B0046, 0x00005B3E
.long 0xD13B0047, 0x00005B3F
.long 0xD3B24004, 0x18028118
.long 0xD3B24006, 0x1802851A
.long 0xD3B24008, 0x1802891C
.long 0xD3B2400A, 0x18028D1E
.long 0xBEC41E3A
.long 0x7E800304
	;; [unrolled: 1-line block ×9, first 2 shown]
.long 0xE07C1000, 0x80044030
.long 0xE07C1010, 0x80044430
.long 0xBF800000
.long 0x7E6602FF, 0x80000000
.long 0xD1196A01, 0x00013B01
.long 0x92469D26
.long 0xD1340002, 0x00008D02
.long 0x92469D24
.long 0xD1340003, 0x00008D03
.long 0xD0C90046, 0x00003100
	;; [unrolled: 1-line block ×3, first 2 shown]
.long 0x86CA4A46
.long 0xD1FE000D, 0x020A0102
.long 0xD100000D, 0x012A1B33
.long 0xE05C1000, 0x8005100D
.long 0xE05C1010, 0x8005140D
.long 0x924602FF, 0x00000100
.long 0xD135000E, 0x00008D00
.long 0x241C1C82
.long 0xD100000E, 0x012A1D33
.long 0xD9FE0000, 0x1800000E
	;; [unrolled: 1-line block ×3, first 2 shown]
.long 0x241E0082
.long 0xE05C1000, 0x800F200F
.long 0xE05C1010, 0x800F240F
	;; [unrolled: 1-line block ×9, first 2 shown]
.long 0x86CA4A46
.long 0xD1FE0030, 0x020A0102
.long 0xD1000030, 0x012A6133
	;; [unrolled: 1-line block ×6, first 2 shown]
.long 0x24626282
.long 0xD1000031, 0x012A6333
.long 0x24640082
.long 0xD1FE0030, 0x020A0103
.long 0xD1000030, 0x012A6133
.long 0xD3D84028, 0x18000160
.long 0xD3D84029, 0x18000164
.long 0xD3D8402A, 0x18000168
.long 0xD3D8402B, 0x1800016C
.long 0xD3D8402C, 0x18000170
.long 0xD3D8402D, 0x18000174
.long 0xD3D8402E, 0x18000178
.long 0xD3D8402F, 0x1800017C
.long 0xD3D84040, 0x18000161
.long 0xD3D84041, 0x18000165
.long 0xD3D84042, 0x18000169
.long 0xD3D84043, 0x1800016D
.long 0xD3D84044, 0x18000171
.long 0xD3D84045, 0x18000175
.long 0xD3D84046, 0x18000179
.long 0xD3D84047, 0x1800017D
.long 0xBF800001
.long 0x0A50502C
	;; [unrolled: 1-line block ×18, first 2 shown]
.long 0xD0CC0030, 0x0001003E
.long 0xD1000020, 0x00C240F2
	;; [unrolled: 1-line block ×28, first 2 shown]
.long 0xBEC41E3A
.long 0x7E500304
	;; [unrolled: 1-line block ×9, first 2 shown]
.long 0xE07C1000, 0x8004280D
.long 0xE07C1010, 0x80042C0D
.long 0xD0CC0030, 0x0001003E
.long 0xD1000020, 0x00C240F2
.long 0xD1000021, 0x00C242F2
.long 0xD3B14040, 0x18028120
.long 0xD0CC0030, 0x0001003E
.long 0xD1000022, 0x00C244F2
.long 0xD1000023, 0x00C246F2
.long 0xD3B14042, 0x18028522
.long 0xD0CC0030, 0x0001003E
.long 0xD1000024, 0x00C248F2
.long 0xD1000025, 0x00C24AF2
.long 0xD3B14044, 0x18028924
.long 0xD0CC0030, 0x0001003E
.long 0xD1000026, 0x00C24CF2
.long 0xD1000027, 0x00C24EF2
.long 0xD3B14046, 0x18028D26
.long 0xD13B0040, 0x00005B38
.long 0xD13B0041, 0x00005B39
.long 0xD13B0042, 0x00005B3A
.long 0xD13B0043, 0x00005B3B
.long 0xD13B0044, 0x00005B3C
.long 0xD13B0045, 0x00005B3D
.long 0xD13B0046, 0x00005B3E
.long 0xD13B0047, 0x00005B3F
.long 0xD3B24004, 0x18028118
.long 0xD3B24006, 0x1802851A
.long 0xD3B24008, 0x1802891C
.long 0xD3B2400A, 0x18028D1E
.long 0xBEC41E3A
.long 0x7E800304
	;; [unrolled: 1-line block ×9, first 2 shown]
.long 0xE07C1000, 0x80044030
.long 0xE07C1010, 0x80044430
.long 0xBF800000
.long 0x7E6602FF, 0x80000000
.long 0xD1196A01, 0x00010301
	;; [unrolled: 1-line block ×6, first 2 shown]
.long 0x86CA4A46
.long 0xD1FE000D, 0x020A0102
.long 0xD100000D, 0x012A1B33
	;; [unrolled: 1-line block ×6, first 2 shown]
.long 0x241C1C82
.long 0xD100000E, 0x012A1D33
.long 0xD9FE0000, 0x1800000E
	;; [unrolled: 1-line block ×3, first 2 shown]
.long 0x241E0082
.long 0xE05C1000, 0x800F200F
.long 0xE05C1010, 0x800F240F
	;; [unrolled: 1-line block ×9, first 2 shown]
.long 0x86CA4A46
.long 0xD1FE0030, 0x020A0102
.long 0xD1000030, 0x012A6133
	;; [unrolled: 1-line block ×6, first 2 shown]
.long 0x24626282
.long 0xD1000031, 0x012A6333
.long 0x24640082
.long 0xD1FE0030, 0x020A0103
.long 0xD1000030, 0x012A6133
	;; [unrolled: 1-line block ×18, first 2 shown]
.long 0xBF800001
.long 0x0A50502C
	;; [unrolled: 1-line block ×18, first 2 shown]
.long 0xD0CC0030, 0x0001003E
.long 0xD1000020, 0x00C240F2
	;; [unrolled: 1-line block ×28, first 2 shown]
.long 0xBEC41E3A
.long 0x7E500304
	;; [unrolled: 1-line block ×9, first 2 shown]
.long 0xE07C1000, 0x8004280D
.long 0xE07C1010, 0x80042C0D
	;; [unrolled: 1-line block ×30, first 2 shown]
.long 0xBEC41E3A
.long 0x7E800304
	;; [unrolled: 1-line block ×9, first 2 shown]
.long 0xE07C1000, 0x80044030
.long 0xE07C1010, 0x80044430
.long 0xBF800000
.long 0x7E6602FF, 0x80000000
.long 0xD1196A01, 0x00013B01
.long 0x92469D26
.long 0xD1340002, 0x00008D02
.long 0x92469D24
.long 0xD1340003, 0x00008D03
.long 0xD0C90046, 0x00003100
	;; [unrolled: 1-line block ×3, first 2 shown]
.long 0x86CA4A46
.long 0xD1FE000D, 0x020A0102
.long 0xD100000D, 0x012A1B33
	;; [unrolled: 1-line block ×6, first 2 shown]
.long 0x241C1C82
.long 0xD100000E, 0x012A1D33
.long 0xD9FE0000, 0x1800000E
	;; [unrolled: 1-line block ×3, first 2 shown]
.long 0x241E0082
.long 0xE05C1000, 0x800F200F
.long 0xE05C1010, 0x800F240F
	;; [unrolled: 1-line block ×9, first 2 shown]
.long 0x86CA4A46
.long 0xD1FE0030, 0x020A0102
.long 0xD1000030, 0x012A6133
	;; [unrolled: 1-line block ×6, first 2 shown]
.long 0x24626282
.long 0xD1000031, 0x012A6333
.long 0x24640082
.long 0xD1FE0030, 0x020A0103
.long 0xD1000030, 0x012A6133
	;; [unrolled: 1-line block ×18, first 2 shown]
.long 0xBF800001
.long 0x0A50502C
	;; [unrolled: 1-line block ×18, first 2 shown]
.long 0xD0CC0030, 0x0001003E
.long 0xD1000020, 0x00C240F2
	;; [unrolled: 1-line block ×28, first 2 shown]
.long 0xBEC41E3A
.long 0x7E500304
	;; [unrolled: 1-line block ×9, first 2 shown]
.long 0xE07C1000, 0x8004280D
.long 0xE07C1010, 0x80042C0D
	;; [unrolled: 1-line block ×30, first 2 shown]
.long 0xBEC41E3A
.long 0x7E800304
	;; [unrolled: 1-line block ×9, first 2 shown]
.long 0xE07C1000, 0x80044030
.long 0xE07C1010, 0x80044430
.long 0xBF800000
.long 0x7E6602FF, 0x80000000
.long 0xD1196A01, 0x00010301
.long 0xD1340002, 0x00004D02
.long 0xD1340003, 0x00004903
.long 0xD0C90046, 0x00003100
.long 0xD0C9004A, 0x00003301
.long 0x86CA4A46
.long 0xD1FE000D, 0x020A0102
.long 0xD100000D, 0x012A1B33
	;; [unrolled: 1-line block ×6, first 2 shown]
.long 0x241C1C82
.long 0xD100000E, 0x012A1D33
.long 0xD9FE0000, 0x1800000E
	;; [unrolled: 1-line block ×3, first 2 shown]
.long 0x241E0082
.long 0xE05C1000, 0x800F200F
.long 0xE05C1010, 0x800F240F
	;; [unrolled: 1-line block ×9, first 2 shown]
.long 0x86CA4A46
.long 0xD1FE0030, 0x020A0102
.long 0xD1000030, 0x012A6133
	;; [unrolled: 1-line block ×6, first 2 shown]
.long 0x24626282
.long 0xD1000031, 0x012A6333
.long 0x24640082
.long 0xD1FE0030, 0x020A0103
.long 0xD1000030, 0x012A6133
	;; [unrolled: 1-line block ×18, first 2 shown]
.long 0xBF800001
.long 0x0A50502C
	;; [unrolled: 1-line block ×18, first 2 shown]
.long 0xD0CC0030, 0x0001003E
.long 0xD1000020, 0x00C240F2
	;; [unrolled: 1-line block ×28, first 2 shown]
.long 0xBEC41E3A
.long 0x7E500304
	;; [unrolled: 1-line block ×9, first 2 shown]
.long 0xE07C1000, 0x8004280D
.long 0xE07C1010, 0x80042C0D
	;; [unrolled: 1-line block ×30, first 2 shown]
.long 0xBEC41E3A
.long 0x7E800304
	;; [unrolled: 1-line block ×9, first 2 shown]
.long 0xE07C1000, 0x80044030
.long 0xE07C1010, 0x80044430
.long 0xBF800000
.long 0x7E6602FF, 0x80000000
.long 0xD1196A01, 0x00013B01
.long 0x92469D26
.long 0xD1340002, 0x00008D02
.long 0x92469D24
.long 0xD1340003, 0x00008D03
.long 0xD0C90046, 0x00003100
	;; [unrolled: 1-line block ×3, first 2 shown]
.long 0x86CA4A46
.long 0xD1FE000D, 0x020A0102
.long 0xD100000D, 0x012A1B33
	;; [unrolled: 1-line block ×6, first 2 shown]
.long 0x241C1C82
.long 0xD100000E, 0x012A1D33
.long 0xD9FE0000, 0x1800000E
	;; [unrolled: 1-line block ×3, first 2 shown]
.long 0x241E0082
.long 0xE05C1000, 0x800F200F
.long 0xE05C1010, 0x800F240F
	;; [unrolled: 1-line block ×9, first 2 shown]
.long 0x86CA4A46
.long 0xD1FE0030, 0x020A0102
.long 0xD1000030, 0x012A6133
	;; [unrolled: 1-line block ×6, first 2 shown]
.long 0x24626282
.long 0xD1000031, 0x012A6333
.long 0x24640082
.long 0xD1FE0030, 0x020A0103
.long 0xD1000030, 0x012A6133
	;; [unrolled: 1-line block ×18, first 2 shown]
.long 0xBF800001
.long 0x0A50502C
	;; [unrolled: 1-line block ×18, first 2 shown]
.long 0xD0CC0030, 0x0001003E
.long 0xD1000020, 0x00C240F2
	;; [unrolled: 1-line block ×28, first 2 shown]
.long 0xBEC41E3A
.long 0x7E500304
	;; [unrolled: 1-line block ×9, first 2 shown]
.long 0xE07C1000, 0x8004280D
.long 0xE07C1010, 0x80042C0D
	;; [unrolled: 1-line block ×30, first 2 shown]
.long 0xBEC41E3A
.long 0x7E800304
	;; [unrolled: 1-line block ×9, first 2 shown]
.long 0xE07C1000, 0x80044030
.long 0xE07C1010, 0x80044430
.long 0xBF800000
.long 0x7E6602FF, 0x80000000
.long 0xD1196A01, 0x00010301
	;; [unrolled: 1-line block ×6, first 2 shown]
.long 0x86CA4A46
.long 0xD1FE000D, 0x020A0102
.long 0xD100000D, 0x012A1B33
	;; [unrolled: 1-line block ×6, first 2 shown]
.long 0x241C1C82
.long 0xD100000E, 0x012A1D33
.long 0xD9FE0000, 0x1800000E
	;; [unrolled: 1-line block ×3, first 2 shown]
.long 0x241E0082
.long 0xE05C1000, 0x800F200F
.long 0xE05C1010, 0x800F240F
	;; [unrolled: 1-line block ×9, first 2 shown]
.long 0x86CA4A46
.long 0xD1FE0030, 0x020A0102
.long 0xD1000030, 0x012A6133
.long 0xE05C1000, 0x80053830
.long 0xE05C1010, 0x80053C30
.long 0x924602FF, 0x00000100
.long 0xD1350031, 0x00008D00
.long 0x24626282
.long 0xD1000031, 0x012A6333
.long 0x24640082
.long 0xD1FE0030, 0x020A0103
.long 0xD1000030, 0x012A6133
.long 0xD3D84028, 0x180001A2
.long 0xD3D84029, 0x180001A6
.long 0xD3D8402A, 0x180001AA
.long 0xD3D8402B, 0x180001AE
.long 0xD3D8402C, 0x180001B2
.long 0xD3D8402D, 0x180001B6
.long 0xD3D8402E, 0x180001BA
.long 0xD3D8402F, 0x180001BE
.long 0xD3D84040, 0x180001A3
.long 0xD3D84041, 0x180001A7
.long 0xD3D84042, 0x180001AB
.long 0xD3D84043, 0x180001AF
.long 0xD3D84044, 0x180001B3
.long 0xD3D84045, 0x180001B7
.long 0xD3D84046, 0x180001BB
.long 0xD3D84047, 0x180001BF
.long 0xBF800001
.long 0x0A50502C
	;; [unrolled: 1-line block ×18, first 2 shown]
.long 0xD0CC0030, 0x0001003E
.long 0xD1000020, 0x00C240F2
	;; [unrolled: 1-line block ×28, first 2 shown]
.long 0xBEC41E3A
.long 0x7E500304
	;; [unrolled: 1-line block ×9, first 2 shown]
.long 0xE07C1000, 0x8004280D
.long 0xE07C1010, 0x80042C0D
	;; [unrolled: 1-line block ×30, first 2 shown]
.long 0xBEC41E3A
.long 0x7E800304
	;; [unrolled: 1-line block ×9, first 2 shown]
.long 0xE07C1000, 0x80044030
.long 0xE07C1010, 0x80044430
.long 0xBF800000
.long 0x7E6602FF, 0x80000000
.long 0xD1196A01, 0x00013B01
.long 0x92469D26
.long 0xD1340002, 0x00008D02
.long 0x92469D24
.long 0xD1340003, 0x00008D03
.long 0xD0C90046, 0x00003100
	;; [unrolled: 1-line block ×3, first 2 shown]
.long 0x86CA4A46
.long 0xD1FE000D, 0x020A0102
.long 0xD100000D, 0x012A1B33
	;; [unrolled: 1-line block ×6, first 2 shown]
.long 0x241C1C82
.long 0xD100000E, 0x012A1D33
.long 0xD9FE0000, 0x1800000E
	;; [unrolled: 1-line block ×3, first 2 shown]
.long 0x241E0082
.long 0xE05C1000, 0x800F200F
.long 0xE05C1010, 0x800F240F
	;; [unrolled: 1-line block ×9, first 2 shown]
.long 0x86CA4A46
.long 0xD1FE0030, 0x020A0102
.long 0xD1000030, 0x012A6133
	;; [unrolled: 1-line block ×6, first 2 shown]
.long 0x24626282
.long 0xD1000031, 0x012A6333
.long 0x24640082
.long 0xD1FE0030, 0x020A0103
.long 0xD1000030, 0x012A6133
	;; [unrolled: 1-line block ×18, first 2 shown]
.long 0xBF800001
.long 0x0A50502C
	;; [unrolled: 1-line block ×18, first 2 shown]
.long 0xD0CC0030, 0x0001003E
.long 0xD1000020, 0x00C240F2
	;; [unrolled: 1-line block ×28, first 2 shown]
.long 0xBEC41E3A
.long 0x7E500304
	;; [unrolled: 1-line block ×9, first 2 shown]
.long 0xE07C1000, 0x8004280D
.long 0xE07C1010, 0x80042C0D
	;; [unrolled: 1-line block ×30, first 2 shown]
.long 0xBEC41E3A
.long 0x7E800304
	;; [unrolled: 1-line block ×9, first 2 shown]
.long 0xE07C1000, 0x80044030
.long 0xE07C1010, 0x80044430
.long 0xBF800000
.long 0x7E6602FF, 0x80000000
.long 0xD1196A01, 0x00010301
	;; [unrolled: 1-line block ×6, first 2 shown]
.long 0x86CA4A46
.long 0xD1FE000D, 0x020A0102
.long 0xD100000D, 0x012A1B33
	;; [unrolled: 1-line block ×6, first 2 shown]
.long 0x241C1C82
.long 0xD100000E, 0x012A1D33
.long 0xD9FE0000, 0x1800000E
	;; [unrolled: 1-line block ×3, first 2 shown]
.long 0x241E0082
.long 0xE05C1000, 0x800F200F
.long 0xE05C1010, 0x800F240F
	;; [unrolled: 1-line block ×9, first 2 shown]
.long 0x86CA4A46
.long 0xD1FE0030, 0x020A0102
.long 0xD1000030, 0x012A6133
	;; [unrolled: 1-line block ×6, first 2 shown]
.long 0x24626282
.long 0xD1000031, 0x012A6333
.long 0x24640082
.long 0xD1FE0030, 0x020A0103
.long 0xD1000030, 0x012A6133
	;; [unrolled: 1-line block ×18, first 2 shown]
.long 0xBF800001
.long 0x0A50502C
	;; [unrolled: 1-line block ×18, first 2 shown]
.long 0xD0CC0030, 0x0001003E
.long 0xD1000020, 0x00C240F2
	;; [unrolled: 1-line block ×28, first 2 shown]
.long 0xBEC41E3A
.long 0x7E500304
	;; [unrolled: 1-line block ×9, first 2 shown]
.long 0xE07C1000, 0x8004280D
.long 0xE07C1010, 0x80042C0D
	;; [unrolled: 1-line block ×30, first 2 shown]
.long 0xBEC41E3A
.long 0x7E800304
	;; [unrolled: 1-line block ×9, first 2 shown]
.long 0xE07C1000, 0x80044030
.long 0xE07C1010, 0x80044430
.long 0xBF800000
.long 0x7E6602FF, 0x80000000
.long 0xD1196A01, 0x00013B01
.long 0x92469D26
.long 0xD1340002, 0x00008D02
.long 0x92469D24
.long 0xD1340003, 0x00008D03
.long 0xD0C90046, 0x00003100
	;; [unrolled: 1-line block ×3, first 2 shown]
.long 0x86CA4A46
.long 0xD1FE000D, 0x020A0102
.long 0xD100000D, 0x012A1B33
.long 0xE05C1000, 0x8005100D
.long 0xE05C1010, 0x8005140D
.long 0x924602FF, 0x00000100
.long 0xD135000E, 0x00008D00
.long 0x241C1C82
.long 0xD100000E, 0x012A1D33
.long 0xD9FE0000, 0x1800000E
	;; [unrolled: 1-line block ×3, first 2 shown]
.long 0x241E0082
.long 0xE05C1000, 0x800F200F
.long 0xE05C1010, 0x800F240F
	;; [unrolled: 1-line block ×9, first 2 shown]
.long 0x86CA4A46
.long 0xD1FE0030, 0x020A0102
.long 0xD1000030, 0x012A6133
	;; [unrolled: 1-line block ×6, first 2 shown]
.long 0x24626282
.long 0xD1000031, 0x012A6333
.long 0x24640082
.long 0xD1FE0030, 0x020A0103
.long 0xD1000030, 0x012A6133
	;; [unrolled: 1-line block ×18, first 2 shown]
.long 0xBF800001
.long 0x0A50502C
	;; [unrolled: 1-line block ×18, first 2 shown]
.long 0xD0CC0030, 0x0001003E
.long 0xD1000020, 0x00C240F2
	;; [unrolled: 1-line block ×28, first 2 shown]
.long 0xBEC41E3A
.long 0x7E500304
	;; [unrolled: 1-line block ×9, first 2 shown]
.long 0xE07C1000, 0x8004280D
.long 0xE07C1010, 0x80042C0D
	;; [unrolled: 1-line block ×30, first 2 shown]
.long 0xBEC41E3A
.long 0x7E800304
	;; [unrolled: 1-line block ×9, first 2 shown]
.long 0xE07C1000, 0x80044030
.long 0xE07C1010, 0x80044430
.long 0xBF800000
.long 0x7E6602FF, 0x80000000
.long 0xD1196A01, 0x00010301
.long 0xD1340002, 0x00004D02
.long 0xD1340003, 0x00004903
.long 0xD0C90046, 0x00003100
.long 0xD0C9004A, 0x00003301
.long 0x86CA4A46
.long 0xD1FE000D, 0x020A0102
.long 0xD100000D, 0x012A1B33
.long 0xE05C1000, 0x8005100D
.long 0xE05C1010, 0x8005140D
.long 0x924602FF, 0x00000100
.long 0xD135000E, 0x00008D00
.long 0x241C1C82
.long 0xD100000E, 0x012A1D33
.long 0xD9FE0000, 0x1800000E
	;; [unrolled: 1-line block ×3, first 2 shown]
.long 0x241E0082
.long 0xE05C1000, 0x800F200F
.long 0xE05C1010, 0x800F240F
	;; [unrolled: 1-line block ×9, first 2 shown]
.long 0x86CA4A46
.long 0xD1FE0030, 0x020A0102
.long 0xD1000030, 0x012A6133
	;; [unrolled: 1-line block ×6, first 2 shown]
.long 0x24626282
.long 0xD1000031, 0x012A6333
.long 0x24640082
.long 0xD1FE0030, 0x020A0103
.long 0xD1000030, 0x012A6133
	;; [unrolled: 1-line block ×18, first 2 shown]
.long 0xBF800001
.long 0x0A50502C
	;; [unrolled: 1-line block ×18, first 2 shown]
.long 0xD0CC0030, 0x0001003E
.long 0xD1000020, 0x00C240F2
	;; [unrolled: 1-line block ×28, first 2 shown]
.long 0xBEC41E3A
.long 0x7E500304
	;; [unrolled: 1-line block ×9, first 2 shown]
.long 0xE07C1000, 0x8004280D
.long 0xE07C1010, 0x80042C0D
.long 0xD0CC0030, 0x0001003E
.long 0xD1000020, 0x00C240F2
.long 0xD1000021, 0x00C242F2
.long 0xD3B14040, 0x18028120
.long 0xD0CC0030, 0x0001003E
.long 0xD1000022, 0x00C244F2
.long 0xD1000023, 0x00C246F2
.long 0xD3B14042, 0x18028522
.long 0xD0CC0030, 0x0001003E
.long 0xD1000024, 0x00C248F2
.long 0xD1000025, 0x00C24AF2
.long 0xD3B14044, 0x18028924
.long 0xD0CC0030, 0x0001003E
.long 0xD1000026, 0x00C24CF2
.long 0xD1000027, 0x00C24EF2
.long 0xD3B14046, 0x18028D26
.long 0xD13B0040, 0x00005B38
.long 0xD13B0041, 0x00005B39
.long 0xD13B0042, 0x00005B3A
.long 0xD13B0043, 0x00005B3B
.long 0xD13B0044, 0x00005B3C
.long 0xD13B0045, 0x00005B3D
.long 0xD13B0046, 0x00005B3E
.long 0xD13B0047, 0x00005B3F
.long 0xD3B24004, 0x18028118
.long 0xD3B24006, 0x1802851A
.long 0xD3B24008, 0x1802891C
.long 0xD3B2400A, 0x18028D1E
.long 0xBEC41E3A
.long 0x7E800304
	;; [unrolled: 1-line block ×9, first 2 shown]
.long 0xE07C1000, 0x80044030
.long 0xE07C1010, 0x80044430
.long 0xBF800000
.long 0x7E6602FF, 0x80000000
.long 0xD1196A01, 0x00013B01
.long 0x92469D26
.long 0xD1340002, 0x00008D02
.long 0x92469D24
.long 0xD1340003, 0x00008D03
.long 0xD0C90046, 0x00003100
	;; [unrolled: 1-line block ×3, first 2 shown]
.long 0x86CA4A46
.long 0xD1FE000D, 0x020A0102
.long 0xD100000D, 0x012A1B33
	;; [unrolled: 1-line block ×6, first 2 shown]
.long 0x241C1C82
.long 0xD100000E, 0x012A1D33
.long 0xD9FE0000, 0x1800000E
	;; [unrolled: 1-line block ×3, first 2 shown]
.long 0x241E0082
.long 0xE05C1000, 0x800F200F
.long 0xE05C1010, 0x800F240F
	;; [unrolled: 1-line block ×9, first 2 shown]
.long 0x86CA4A46
.long 0xD1FE0030, 0x020A0102
.long 0xD1000030, 0x012A6133
	;; [unrolled: 1-line block ×6, first 2 shown]
.long 0x24626282
.long 0xD1000031, 0x012A6333
.long 0x24640082
.long 0xD1FE0030, 0x020A0103
.long 0xD1000030, 0x012A6133
.long 0x7E5003A0
.long 0x7E5203A4
	;; [unrolled: 1-line block ×34, first 2 shown]
.long 0xD0CC0030, 0x0001003E
.long 0xD1000020, 0x00C240F2
	;; [unrolled: 1-line block ×28, first 2 shown]
.long 0xBEC41E3A
.long 0x7E500304
.long 0x7E520305
.long 0x7E540306
.long 0x7E560307
.long 0x7E580308
.long 0x7E5A0309
.long 0x7E5C030A
.long 0x7E5E030B
.long 0xE07C1000, 0x8004280D
.long 0xE07C1010, 0x80042C0D
	;; [unrolled: 1-line block ×30, first 2 shown]
.long 0xBEC41E3A
.long 0x7E800304
	;; [unrolled: 1-line block ×9, first 2 shown]
.long 0xE07C1000, 0x80044030
.long 0xE07C1010, 0x80044430
.long 0xBF800000
.long 0x7E6602FF, 0x80000000
.long 0xD1196A01, 0x00010301
	;; [unrolled: 1-line block ×6, first 2 shown]
.long 0x86CA4A46
.long 0xD1FE000D, 0x020A0102
.long 0xD100000D, 0x012A1B33
	;; [unrolled: 1-line block ×6, first 2 shown]
.long 0x241C1C82
.long 0xD100000E, 0x012A1D33
.long 0xD9FE0000, 0x1800000E
	;; [unrolled: 1-line block ×3, first 2 shown]
.long 0x241E0082
.long 0xE05C1000, 0x800F200F
.long 0xE05C1010, 0x800F240F
	;; [unrolled: 1-line block ×9, first 2 shown]
.long 0x86CA4A46
.long 0xD1FE0030, 0x020A0102
.long 0xD1000030, 0x012A6133
	;; [unrolled: 1-line block ×6, first 2 shown]
.long 0x24626282
.long 0xD1000031, 0x012A6333
.long 0x24640082
.long 0xD1FE0030, 0x020A0103
.long 0xD1000030, 0x012A6133
.long 0x7E5003A2
.long 0x7E5203A6
	;; [unrolled: 1-line block ×34, first 2 shown]
.long 0xD0CC0030, 0x0001003E
.long 0xD1000020, 0x00C240F2
	;; [unrolled: 1-line block ×28, first 2 shown]
.long 0xBEC41E3A
.long 0x7E500304
	;; [unrolled: 1-line block ×9, first 2 shown]
.long 0xE07C1000, 0x8004280D
.long 0xE07C1010, 0x80042C0D
	;; [unrolled: 1-line block ×30, first 2 shown]
.long 0xBEC41E3A
.long 0x7E800304
	;; [unrolled: 1-line block ×9, first 2 shown]
.long 0xE07C1000, 0x80044030
.long 0xE07C1010, 0x80044430
.long 0xBF800000
.long 0x7E6602FF, 0x80000000
.long 0xD1196A01, 0x00013B01
.long 0x92469D26
.long 0xD1340002, 0x00008D02
.long 0x92469D24
.long 0xD1340003, 0x00008D03
.long 0xD0C90046, 0x00003100
	;; [unrolled: 1-line block ×3, first 2 shown]
.long 0x86CA4A46
.long 0xD1FE000D, 0x020A0102
.long 0xD100000D, 0x012A1B33
	;; [unrolled: 1-line block ×6, first 2 shown]
.long 0x241C1C82
.long 0xD100000E, 0x012A1D33
.long 0xD9FE0000, 0x1800000E
	;; [unrolled: 1-line block ×3, first 2 shown]
.long 0x241E0082
.long 0xE05C1000, 0x800F200F
.long 0xE05C1010, 0x800F240F
	;; [unrolled: 1-line block ×9, first 2 shown]
.long 0x86CA4A46
.long 0xD1FE0030, 0x020A0102
.long 0xD1000030, 0x012A6133
	;; [unrolled: 1-line block ×6, first 2 shown]
.long 0x24626282
.long 0xD1000031, 0x012A6333
.long 0x24640082
.long 0xD1FE0030, 0x020A0103
.long 0xD1000030, 0x012A6133
.long 0x7E5003C0
.long 0x7E5203C4
.long 0x7E5403C8
.long 0x7E5603CC
.long 0x7E5803D0
.long 0x7E5A03D4
.long 0x7E5C03D8
.long 0x7E5E03DC
.long 0x7E8003C1
.long 0x7E8203C5
.long 0x7E8403C9
.long 0x7E8603CD
.long 0x7E8803D1
.long 0x7E8A03D5
.long 0x7E8C03D9
.long 0x7E8E03DD
.long 0xBF800001
.long 0x0A50502C
.long 0x0A52522C
.long 0x0A54542C
.long 0x0A56562C
.long 0x0A58582C
.long 0x0A5A5A2C
.long 0x0A5C5C2C
.long 0x0A5E5E2C
.long 0x0A80802C
.long 0x0A82822C
.long 0x0A84842C
.long 0x0A86862C
.long 0x0A88882C
.long 0x0A8A8A2C
.long 0x0A8C8C2C
.long 0x0A8E8E2C
.long 0xBF8C0000
.long 0xD0CC0030, 0x0001003E
.long 0xD1000020, 0x00C240F2
	;; [unrolled: 1-line block ×28, first 2 shown]
.long 0xBEC41E3A
.long 0x7E500304
	;; [unrolled: 1-line block ×9, first 2 shown]
.long 0xE07C1000, 0x8004280D
.long 0xE07C1010, 0x80042C0D
	;; [unrolled: 1-line block ×30, first 2 shown]
.long 0xBEC41E3A
.long 0x7E800304
	;; [unrolled: 1-line block ×9, first 2 shown]
.long 0xE07C1000, 0x80044030
.long 0xE07C1010, 0x80044430
.long 0xBF800000
.long 0x7E6602FF, 0x80000000
.long 0xD1196A01, 0x00010301
	;; [unrolled: 1-line block ×6, first 2 shown]
.long 0x86CA4A46
.long 0xD1FE000D, 0x020A0102
.long 0xD100000D, 0x012A1B33
	;; [unrolled: 1-line block ×6, first 2 shown]
.long 0x241C1C82
.long 0xD100000E, 0x012A1D33
.long 0xD9FE0000, 0x1800000E
	;; [unrolled: 1-line block ×3, first 2 shown]
.long 0x241E0082
.long 0xE05C1000, 0x800F200F
.long 0xE05C1010, 0x800F240F
	;; [unrolled: 1-line block ×9, first 2 shown]
.long 0x86CA4A46
.long 0xD1FE0030, 0x020A0102
.long 0xD1000030, 0x012A6133
	;; [unrolled: 1-line block ×6, first 2 shown]
.long 0x24626282
.long 0xD1000031, 0x012A6333
.long 0x24640082
.long 0xD1FE0030, 0x020A0103
.long 0xD1000030, 0x012A6133
.long 0x7E5003C2
.long 0x7E5203C6
	;; [unrolled: 1-line block ×34, first 2 shown]
.long 0xD0CC0030, 0x0001003E
.long 0xD1000020, 0x00C240F2
	;; [unrolled: 1-line block ×28, first 2 shown]
.long 0xBEC41E3A
.long 0x7E500304
	;; [unrolled: 1-line block ×9, first 2 shown]
.long 0xE07C1000, 0x8004280D
.long 0xE07C1010, 0x80042C0D
	;; [unrolled: 1-line block ×30, first 2 shown]
.long 0xBEC41E3A
.long 0x7E800304
	;; [unrolled: 1-line block ×9, first 2 shown]
.long 0xE07C1000, 0x80044030
.long 0xE07C1010, 0x80044430
.long 0xBF800000
.long 0x7E6602FF, 0x80000000
.long 0xD1196A01, 0x00013B01
.long 0x92469D26
.long 0xD1340002, 0x00008D02
.long 0x92469D24
.long 0xD1340003, 0x00008D03
.long 0xD0C90046, 0x00003100
	;; [unrolled: 1-line block ×3, first 2 shown]
.long 0x86CA4A46
.long 0xD1FE000D, 0x020A0102
.long 0xD100000D, 0x012A1B33
	;; [unrolled: 1-line block ×6, first 2 shown]
.long 0x241C1C82
.long 0xD100000E, 0x012A1D33
.long 0xD9FE0000, 0x1800000E
	;; [unrolled: 1-line block ×3, first 2 shown]
.long 0x241E0082
.long 0xE05C1000, 0x800F200F
.long 0xE05C1010, 0x800F240F
	;; [unrolled: 1-line block ×9, first 2 shown]
.long 0x86CA4A46
.long 0xD1FE0030, 0x020A0102
.long 0xD1000030, 0x012A6133
	;; [unrolled: 1-line block ×6, first 2 shown]
.long 0x24626282
.long 0xD1000031, 0x012A6333
.long 0x24640082
.long 0xD1FE0030, 0x020A0103
.long 0xD1000030, 0x012A6133
.long 0x7E5003E0
.long 0x7E5203E4
	;; [unrolled: 1-line block ×34, first 2 shown]
.long 0xD0CC0030, 0x0001003E
.long 0xD1000020, 0x00C240F2
	;; [unrolled: 1-line block ×28, first 2 shown]
.long 0xBEC41E3A
.long 0x7E500304
	;; [unrolled: 1-line block ×9, first 2 shown]
.long 0xE07C1000, 0x8004280D
.long 0xE07C1010, 0x80042C0D
	;; [unrolled: 1-line block ×30, first 2 shown]
.long 0xBEC41E3A
.long 0x7E800304
	;; [unrolled: 1-line block ×9, first 2 shown]
.long 0xE07C1000, 0x80044030
.long 0xE07C1010, 0x80044430
.long 0xBF800000
.long 0x7E6602FF, 0x80000000
.long 0xD1196A01, 0x00010301
	;; [unrolled: 1-line block ×6, first 2 shown]
.long 0x86CA4A46
.long 0xD1FE000D, 0x020A0102
.long 0xD100000D, 0x012A1B33
	;; [unrolled: 1-line block ×6, first 2 shown]
.long 0x241C1C82
.long 0xD100000E, 0x012A1D33
.long 0xD9FE0000, 0x1800000E
	;; [unrolled: 1-line block ×3, first 2 shown]
.long 0x241E0082
.long 0xE05C1000, 0x800F200F
.long 0xE05C1010, 0x800F240F
	;; [unrolled: 1-line block ×9, first 2 shown]
.long 0x86CA4A46
.long 0xD1FE0030, 0x020A0102
.long 0xD1000030, 0x012A6133
	;; [unrolled: 1-line block ×6, first 2 shown]
.long 0x24626282
.long 0xD1000031, 0x012A6333
.long 0x24640082
.long 0xD1FE0030, 0x020A0103
.long 0xD1000030, 0x012A6133
.long 0x7E5003E2
.long 0x7E5203E6
	;; [unrolled: 1-line block ×34, first 2 shown]
.long 0xD0CC0030, 0x0001003E
.long 0xD1000020, 0x00C240F2
	;; [unrolled: 1-line block ×28, first 2 shown]
.long 0xBEC41E3A
.long 0x7E500304
	;; [unrolled: 1-line block ×9, first 2 shown]
.long 0xE07C1000, 0x8004280D
.long 0xE07C1010, 0x80042C0D
	;; [unrolled: 1-line block ×30, first 2 shown]
.long 0xBEC41E3A
.long 0x7E800304
	;; [unrolled: 1-line block ×9, first 2 shown]
.long 0xE07C1000, 0x80044030
.long 0xE07C1010, 0x80044430
.long 0xBF800000
.long 0xBF820000
	;; [unrolled: 1-line block ×4, first 2 shown]
.long 0x260808FF, 0x7FFFFFFF
.long 0x260A0AFF, 0x7FFFFFFF
	;; [unrolled: 1-line block ×8, first 2 shown]
.long 0xBE801D44
.long 0xD044006A, 0x00006D04
.long 0x14080837
.long 0x00080880
.long 0xD044006A, 0x00006D05
.long 0x140A0A37
	;; [unrolled: 3-line block ×8, first 2 shown]
.long 0x00161680
.long 0xBE801D44
.long 0x0A1808FF, 0x3D372713
.long 0xD1CB000C, 0x03CA1904
.long 0x0A181904
.long 0x0A1818FF, 0x40135761
.long 0x7E18410C
.long 0xBF800000
.long 0x021818F2
.long 0x7E18450C
.long 0xBF800000
.long 0xD1CB000C, 0x03D218F5
.long 0x0A181904
.long 0x0A0818F0
.long 0x0A180AFF, 0x3D372713
.long 0xD1CB000C, 0x03CA1905
.long 0x0A181905
.long 0x0A1818FF, 0x40135761
.long 0x7E18410C
.long 0xBF800000
.long 0x021818F2
.long 0x7E18450C
.long 0xBF800000
.long 0xD1CB000C, 0x03D218F5
	;; [unrolled: 12-line block ×8, first 2 shown]
.long 0x0A18190B
.long 0x0A1618F0
	;; [unrolled: 1-line block ×4, first 2 shown]
.long 0xD046006A, 0x00010104
.long 0x0008090C
.long 0x0A180A36
.long 0xD046006A, 0x00010105
.long 0x000A0B0C
.long 0x0A180C36
	;; [unrolled: 3-line block ×8, first 2 shown]
.long 0xD10B0004, 0x00010104
.long 0xD10B0005, 0x00010105
	;; [unrolled: 1-line block ×8, first 2 shown]
.long 0xBE801D44
.long 0x0A0808FF, 0xBFB8AA3B
.long 0x7E084104
.long 0xBF800000
.long 0x020808F2
.long 0x7E084504
.long 0xBF800000
.long 0x0A0A0AFF, 0xBFB8AA3B
.long 0x7E0A4105
.long 0xBF800000
.long 0x020A0AF2
.long 0x7E0A4505
	;; [unrolled: 6-line block ×8, first 2 shown]
.long 0xBF800000
.long 0xBE801D44
	;; [unrolled: 1-line block ×3, first 2 shown]
.long 0x0A0808FF, 0x4038AA3B
.long 0x7E084104
.long 0xBF800000
.long 0x020808F2
.long 0x7E084504
.long 0xBF800000
.long 0xD1CB0004, 0x03CA08F5
.long 0x0A080837
.long 0x0A0A0A36
.long 0x0A0A0AFF, 0x4038AA3B
.long 0x7E0A4105
.long 0xBF800000
.long 0x020A0AF2
.long 0x7E0A4505
.long 0xBF800000
.long 0xD1CB0005, 0x03CA0AF5
.long 0x0A0A0A37
.long 0x0A0C0C36
	;; [unrolled: 9-line block ×8, first 2 shown]
.long 0x0A1808FF, 0x3D372713
.long 0xD1CB000C, 0x03CA1904
.long 0x0A181904
.long 0x0A1818FF, 0x40135761
.long 0x7E18410C
.long 0xBF800000
.long 0x021818F2
.long 0x7E18450C
.long 0xBF800000
.long 0xD1CB000C, 0x03D218F5
.long 0x0A181904
.long 0x0A1818F0
.long 0x0A081836
.long 0x0A180AFF, 0x3D372713
.long 0xD1CB000C, 0x03CA1905
.long 0x0A181905
.long 0x0A1818FF, 0x40135761
.long 0x7E18410C
.long 0xBF800000
.long 0x021818F2
.long 0x7E18450C
.long 0xBF800000
.long 0xD1CB000C, 0x03D218F5
.long 0x0A181905
.long 0x0A1818F0
.long 0x0A0A1836
	;; [unrolled: 13-line block ×8, first 2 shown]
.long 0xBE801D44
.long 0xBF810000
